;; amdgpu-corpus repo=ROCm/rocFFT kind=compiled arch=gfx906 opt=O3
	.text
	.amdgcn_target "amdgcn-amd-amdhsa--gfx906"
	.amdhsa_code_object_version 6
	.protected	bluestein_single_fwd_len1155_dim1_dp_op_CI_CI ; -- Begin function bluestein_single_fwd_len1155_dim1_dp_op_CI_CI
	.globl	bluestein_single_fwd_len1155_dim1_dp_op_CI_CI
	.p2align	8
	.type	bluestein_single_fwd_len1155_dim1_dp_op_CI_CI,@function
bluestein_single_fwd_len1155_dim1_dp_op_CI_CI: ; @bluestein_single_fwd_len1155_dim1_dp_op_CI_CI
; %bb.0:
	s_load_dwordx4 s[8:11], s[4:5], 0x28
	s_mov_b64 s[50:51], s[2:3]
	v_mul_u32_u24_e32 v1, 0x4a8, v0
	s_mov_b64 s[48:49], s[0:1]
	v_add_u32_sdwa v4, s6, v1 dst_sel:DWORD dst_unused:UNUSED_PAD src0_sel:DWORD src1_sel:WORD_1
	v_mov_b32_e32 v5, 0
	s_add_u32 s48, s48, s7
	s_waitcnt lgkmcnt(0)
	v_cmp_gt_u64_e32 vcc, s[8:9], v[4:5]
	s_addc_u32 s49, s49, 0
	s_and_saveexec_b64 s[0:1], vcc
	s_cbranch_execz .LBB0_23
; %bb.1:
	s_load_dwordx4 s[12:15], s[4:5], 0x18
	s_load_dwordx2 s[16:17], s[4:5], 0x0
	v_mov_b32_e32 v2, 55
	v_mul_lo_u16_sdwa v1, v1, v2 dst_sel:DWORD dst_unused:UNUSED_PAD src0_sel:WORD_1 src1_sel:DWORD
	v_sub_u16_e32 v217, v0, v1
	s_waitcnt lgkmcnt(0)
	s_load_dwordx4 s[0:3], s[12:13], 0x0
	v_mov_b32_e32 v5, v4
	buffer_store_dword v5, off, s[48:51], 0 offset:48 ; 4-byte Folded Spill
	s_nop 0
	buffer_store_dword v6, off, s[48:51], 0 offset:52 ; 4-byte Folded Spill
	v_lshlrev_b32_e32 v190, 4, v217
	s_waitcnt lgkmcnt(0)
	v_mad_u64_u32 v[0:1], s[6:7], s2, v4, 0
	v_mad_u64_u32 v[2:3], s[6:7], s0, v217, 0
	s_mul_i32 s6, s1, 0x69
	s_mul_hi_u32 s7, s0, 0x69
	v_mad_u64_u32 v[4:5], s[2:3], s3, v4, v[1:2]
	s_add_i32 s7, s7, s6
	s_mul_i32 s6, s0, 0x69
	v_mad_u64_u32 v[5:6], s[2:3], s1, v217, v[3:4]
	v_mov_b32_e32 v1, v4
	v_lshlrev_b64 v[0:1], 4, v[0:1]
	v_mov_b32_e32 v6, s11
	v_mov_b32_e32 v3, v5
	v_add_co_u32_e32 v4, vcc, s10, v0
	v_addc_co_u32_e32 v5, vcc, v6, v1, vcc
	v_lshlrev_b64 v[0:1], 4, v[2:3]
	v_mov_b32_e32 v2, s17
	v_add_co_u32_e32 v0, vcc, v4, v0
	v_add_co_u32_e64 v88, s[2:3], s16, v190
	v_addc_co_u32_e32 v1, vcc, v5, v1, vcc
	v_addc_co_u32_e64 v89, vcc, 0, v2, s[2:3]
	s_lshl_b64 s[12:13], s[6:7], 4
	v_mov_b32_e32 v9, s13
	v_add_co_u32_e32 v2, vcc, s12, v0
	v_addc_co_u32_e32 v3, vcc, v1, v9, vcc
	global_load_dwordx4 v[10:13], v[0:1], off
	global_load_dwordx4 v[14:17], v[2:3], off
	global_load_dwordx4 v[110:113], v190, s[16:17]
	global_load_dwordx4 v[98:101], v190, s[16:17] offset:1680
	v_add_co_u32_e32 v0, vcc, s12, v2
	v_addc_co_u32_e32 v1, vcc, v3, v9, vcc
	global_load_dwordx4 v[70:73], v190, s[16:17] offset:3360
	v_add_co_u32_e32 v2, vcc, s12, v0
	v_addc_co_u32_e32 v3, vcc, v1, v9, vcc
	global_load_dwordx4 v[18:21], v[0:1], off
	global_load_dwordx4 v[22:25], v[2:3], off
	s_movk_i32 s6, 0x1000
	v_add_co_u32_e32 v0, vcc, s6, v88
	v_addc_co_u32_e32 v1, vcc, 0, v89, vcc
	v_add_co_u32_e32 v2, vcc, s12, v2
	v_addc_co_u32_e32 v3, vcc, v3, v9, vcc
	;; [unrolled: 2-line block ×3, first 2 shown]
	s_movk_i32 s6, 0x2000
	global_load_dwordx4 v[26:29], v[2:3], off
	global_load_dwordx4 v[102:105], v[0:1], off offset:944
	global_load_dwordx4 v[78:81], v[0:1], off offset:2624
	v_add_co_u32_e32 v2, vcc, s6, v88
	v_addc_co_u32_e32 v3, vcc, 0, v89, vcc
	global_load_dwordx4 v[30:33], v[4:5], off
	v_add_co_u32_e32 v4, vcc, s12, v4
	v_addc_co_u32_e32 v5, vcc, v5, v9, vcc
	global_load_dwordx4 v[34:37], v[4:5], off
	global_load_dwordx4 v[106:109], v[2:3], off offset:208
	global_load_dwordx4 v[82:85], v[2:3], off offset:1888
	v_add_co_u32_e32 v4, vcc, s12, v4
	v_addc_co_u32_e32 v5, vcc, v5, v9, vcc
	v_add_co_u32_e32 v6, vcc, s12, v4
	v_addc_co_u32_e32 v7, vcc, v5, v9, vcc
	s_movk_i32 s6, 0x3000
	global_load_dwordx4 v[38:41], v[4:5], off
	global_load_dwordx4 v[74:77], v[2:3], off offset:3568
	v_add_co_u32_e32 v4, vcc, s6, v88
	v_addc_co_u32_e32 v5, vcc, 0, v89, vcc
	global_load_dwordx4 v[42:45], v[6:7], off
	v_add_co_u32_e32 v6, vcc, s12, v6
	v_addc_co_u32_e32 v7, vcc, v7, v9, vcc
	v_add_co_u32_e32 v8, vcc, s12, v6
	v_addc_co_u32_e32 v9, vcc, v7, v9, vcc
	s_movk_i32 s6, 0x4000
	global_load_dwordx4 v[46:49], v[6:7], off
	global_load_dwordx4 v[90:93], v[4:5], off offset:1152
	global_load_dwordx4 v[66:69], v[4:5], off offset:2832
	v_add_co_u32_e32 v6, vcc, s6, v88
	v_addc_co_u32_e32 v7, vcc, 0, v89, vcc
	global_load_dwordx4 v[50:53], v[8:9], off
	global_load_dwordx4 v[94:97], v[6:7], off offset:416
	v_cmp_gt_u16_e32 vcc, 50, v217
	s_waitcnt vmcnt(19)
	v_mul_f64 v[54:55], v[12:13], v[112:113]
	s_waitcnt vmcnt(18)
	v_mul_f64 v[58:59], v[16:17], v[100:101]
	v_mul_f64 v[56:57], v[10:11], v[112:113]
	;; [unrolled: 1-line block ×3, first 2 shown]
	v_fma_f64 v[10:11], v[10:11], v[110:111], v[54:55]
	buffer_store_dword v110, off, s[48:51], 0 offset:220 ; 4-byte Folded Spill
	s_nop 0
	buffer_store_dword v111, off, s[48:51], 0 offset:224 ; 4-byte Folded Spill
	buffer_store_dword v112, off, s[48:51], 0 offset:228 ; 4-byte Folded Spill
	buffer_store_dword v113, off, s[48:51], 0 offset:232 ; 4-byte Folded Spill
	s_waitcnt vmcnt(20)
	v_mul_f64 v[62:63], v[20:21], v[72:73]
	v_fma_f64 v[14:15], v[14:15], v[98:99], v[58:59]
	buffer_store_dword v98, off, s[48:51], 0 offset:172 ; 4-byte Folded Spill
	s_nop 0
	buffer_store_dword v99, off, s[48:51], 0 offset:176 ; 4-byte Folded Spill
	buffer_store_dword v100, off, s[48:51], 0 offset:180 ; 4-byte Folded Spill
	;; [unrolled: 1-line block ×3, first 2 shown]
	v_mul_f64 v[64:65], v[18:19], v[72:73]
	v_fma_f64 v[18:19], v[18:19], v[70:71], v[62:63]
	buffer_store_dword v70, off, s[48:51], 0 offset:76 ; 4-byte Folded Spill
	s_nop 0
	buffer_store_dword v71, off, s[48:51], 0 offset:80 ; 4-byte Folded Spill
	buffer_store_dword v72, off, s[48:51], 0 offset:84 ; 4-byte Folded Spill
	;; [unrolled: 1-line block ×3, first 2 shown]
	s_load_dwordx2 s[6:7], s[4:5], 0x38
	s_load_dwordx4 s[8:11], s[14:15], 0x0
	s_waitcnt vmcnt(20)
	v_mul_f64 v[54:55], v[36:37], v[84:85]
	v_fma_f64 v[12:13], v[12:13], v[110:111], -v[56:57]
	v_mul_f64 v[56:57], v[34:35], v[84:85]
	v_fma_f64 v[16:17], v[16:17], v[98:99], -v[60:61]
	v_fma_f64 v[20:21], v[20:21], v[70:71], -v[64:65]
	ds_write_b128 v190, v[10:13]
	ds_write_b128 v190, v[14:17] offset:1680
	ds_write_b128 v190, v[18:21] offset:3360
	v_mul_f64 v[10:11], v[24:25], v[104:105]
	v_mul_f64 v[14:15], v[28:29], v[80:81]
	;; [unrolled: 1-line block ×6, first 2 shown]
	v_fma_f64 v[10:11], v[22:23], v[102:103], v[10:11]
	buffer_store_dword v102, off, s[48:51], 0 offset:188 ; 4-byte Folded Spill
	s_nop 0
	buffer_store_dword v103, off, s[48:51], 0 offset:192 ; 4-byte Folded Spill
	buffer_store_dword v104, off, s[48:51], 0 offset:196 ; 4-byte Folded Spill
	buffer_store_dword v105, off, s[48:51], 0 offset:200 ; 4-byte Folded Spill
	v_fma_f64 v[14:15], v[26:27], v[78:79], v[14:15]
	buffer_store_dword v78, off, s[48:51], 0 offset:108 ; 4-byte Folded Spill
	s_nop 0
	buffer_store_dword v79, off, s[48:51], 0 offset:112 ; 4-byte Folded Spill
	buffer_store_dword v80, off, s[48:51], 0 offset:116 ; 4-byte Folded Spill
	buffer_store_dword v81, off, s[48:51], 0 offset:120 ; 4-byte Folded Spill
	;; [unrolled: 6-line block ×4, first 2 shown]
	s_waitcnt vmcnt(34)
	v_mul_f64 v[26:27], v[40:41], v[76:77]
	s_waitcnt vmcnt(31)
	v_mul_f64 v[30:31], v[44:45], v[92:93]
	;; [unrolled: 2-line block ×4, first 2 shown]
	v_fma_f64 v[26:27], v[38:39], v[74:75], v[26:27]
	v_fma_f64 v[30:31], v[42:43], v[90:91], v[30:31]
	;; [unrolled: 1-line block ×3, first 2 shown]
	v_fma_f64 v[12:13], v[24:25], v[102:103], -v[12:13]
	v_fma_f64 v[16:17], v[28:29], v[78:79], -v[16:17]
	v_mul_f64 v[28:29], v[38:39], v[76:77]
	buffer_store_dword v74, off, s[48:51], 0 offset:92 ; 4-byte Folded Spill
	s_nop 0
	buffer_store_dword v75, off, s[48:51], 0 offset:96 ; 4-byte Folded Spill
	buffer_store_dword v76, off, s[48:51], 0 offset:100 ; 4-byte Folded Spill
	buffer_store_dword v77, off, s[48:51], 0 offset:104 ; 4-byte Folded Spill
	v_fma_f64 v[20:21], v[32:33], v[106:107], -v[20:21]
	v_mul_f64 v[32:33], v[42:43], v[92:93]
	buffer_store_dword v90, off, s[48:51], 0 offset:140 ; 4-byte Folded Spill
	s_nop 0
	buffer_store_dword v91, off, s[48:51], 0 offset:144 ; 4-byte Folded Spill
	buffer_store_dword v92, off, s[48:51], 0 offset:148 ; 4-byte Folded Spill
	buffer_store_dword v93, off, s[48:51], 0 offset:152 ; 4-byte Folded Spill
	;; [unrolled: 7-line block ×3, first 2 shown]
	v_mul_f64 v[56:57], v[50:51], v[96:97]
	v_fma_f64 v[38:39], v[50:51], v[94:95], v[54:55]
	buffer_store_dword v94, off, s[48:51], 0 offset:156 ; 4-byte Folded Spill
	s_nop 0
	buffer_store_dword v95, off, s[48:51], 0 offset:160 ; 4-byte Folded Spill
	buffer_store_dword v96, off, s[48:51], 0 offset:164 ; 4-byte Folded Spill
	;; [unrolled: 1-line block ×3, first 2 shown]
	v_fma_f64 v[28:29], v[40:41], v[74:75], -v[28:29]
	v_fma_f64 v[32:33], v[44:45], v[90:91], -v[32:33]
	v_fma_f64 v[36:37], v[48:49], v[66:67], -v[36:37]
	v_fma_f64 v[40:41], v[52:53], v[94:95], -v[56:57]
	ds_write_b128 v190, v[10:13] offset:5040
	ds_write_b128 v190, v[14:17] offset:6720
	;; [unrolled: 1-line block ×8, first 2 shown]
	s_and_saveexec_b64 s[14:15], vcc
	s_cbranch_execz .LBB0_3
; %bb.2:
	v_mov_b32_e32 v10, 0xffffc1d0
	v_mad_u64_u32 v[12:13], s[18:19], s0, v10, v[8:9]
	s_mulk_i32 s1, 0xc1d0
	s_sub_i32 s0, s1, s0
	v_add_u32_e32 v13, s0, v13
	v_mov_b32_e32 v86, s13
	v_add_co_u32_e64 v24, s[0:1], s12, v12
	v_addc_co_u32_e64 v25, s[0:1], v13, v86, s[0:1]
	v_add_co_u32_e64 v28, s[0:1], s12, v24
	global_load_dwordx4 v[8:11], v[12:13], off
	v_addc_co_u32_e64 v29, s[0:1], v25, v86, s[0:1]
	global_load_dwordx4 v[12:15], v[24:25], off
	global_load_dwordx4 v[16:19], v[88:89], off offset:880
	global_load_dwordx4 v[20:23], v[88:89], off offset:2560
	v_add_co_u32_e64 v40, s[0:1], s12, v28
	global_load_dwordx4 v[24:27], v[28:29], off
	v_addc_co_u32_e64 v41, s[0:1], v29, v86, s[0:1]
	global_load_dwordx4 v[28:31], v[40:41], off
	global_load_dwordx4 v[32:35], v[0:1], off offset:144
	global_load_dwordx4 v[36:39], v[0:1], off offset:1824
	v_add_co_u32_e64 v44, s[0:1], s12, v40
	v_addc_co_u32_e64 v45, s[0:1], v41, v86, s[0:1]
	v_add_co_u32_e64 v56, s[0:1], s12, v44
	v_addc_co_u32_e64 v57, s[0:1], v45, v86, s[0:1]
	global_load_dwordx4 v[40:43], v[44:45], off
	s_nop 0
	global_load_dwordx4 v[44:47], v[56:57], off
	global_load_dwordx4 v[48:51], v[0:1], off offset:3504
	global_load_dwordx4 v[52:55], v[2:3], off offset:1088
	v_add_co_u32_e64 v0, s[0:1], s12, v56
	v_addc_co_u32_e64 v1, s[0:1], v57, v86, s[0:1]
	global_load_dwordx4 v[56:59], v[0:1], off
	v_add_co_u32_e64 v0, s[0:1], s12, v0
	v_addc_co_u32_e64 v1, s[0:1], v1, v86, s[0:1]
	v_add_co_u32_e64 v76, s[0:1], s12, v0
	v_addc_co_u32_e64 v77, s[0:1], v1, v86, s[0:1]
	v_add_co_u32_e64 v84, s[0:1], s12, v76
	global_load_dwordx4 v[60:63], v[0:1], off
	global_load_dwordx4 v[64:67], v[2:3], off offset:2768
	global_load_dwordx4 v[68:71], v[4:5], off offset:352
	v_addc_co_u32_e64 v85, s[0:1], v77, v86, s[0:1]
	global_load_dwordx4 v[0:3], v[76:77], off
	global_load_dwordx4 v[72:75], v[4:5], off offset:2032
	s_nop 0
	global_load_dwordx4 v[76:79], v[84:85], off
	global_load_dwordx4 v[80:83], v[4:5], off offset:3712
	v_add_co_u32_e64 v84, s[0:1], s12, v84
	v_addc_co_u32_e64 v85, s[0:1], v85, v86, s[0:1]
	global_load_dwordx4 v[4:7], v[6:7], off offset:1296
	s_nop 0
	global_load_dwordx4 v[84:87], v[84:85], off
	s_waitcnt vmcnt(19)
	v_mul_f64 v[90:91], v[10:11], v[18:19]
	v_mul_f64 v[18:19], v[8:9], v[18:19]
	s_waitcnt vmcnt(18)
	v_mul_f64 v[92:93], v[14:15], v[22:23]
	v_mul_f64 v[22:23], v[12:13], v[22:23]
	;; [unrolled: 3-line block ×3, first 2 shown]
	v_fma_f64 v[8:9], v[8:9], v[16:17], v[90:91]
	v_fma_f64 v[10:11], v[10:11], v[16:17], -v[18:19]
	v_fma_f64 v[12:13], v[12:13], v[20:21], v[92:93]
	v_fma_f64 v[14:15], v[14:15], v[20:21], -v[22:23]
	s_waitcnt vmcnt(14)
	v_mul_f64 v[96:97], v[30:31], v[38:39]
	v_mul_f64 v[38:39], v[28:29], v[38:39]
	v_fma_f64 v[16:17], v[24:25], v[32:33], v[94:95]
	v_fma_f64 v[18:19], v[26:27], v[32:33], -v[34:35]
	s_waitcnt vmcnt(11)
	v_mul_f64 v[98:99], v[42:43], v[50:51]
	v_mul_f64 v[50:51], v[40:41], v[50:51]
	s_waitcnt vmcnt(10)
	v_mul_f64 v[100:101], v[46:47], v[54:55]
	v_mul_f64 v[54:55], v[44:45], v[54:55]
	ds_write_b128 v190, v[8:11] offset:880
	ds_write_b128 v190, v[12:15] offset:2560
	;; [unrolled: 1-line block ×3, first 2 shown]
	v_fma_f64 v[20:21], v[28:29], v[36:37], v[96:97]
	v_fma_f64 v[22:23], v[30:31], v[36:37], -v[38:39]
	v_fma_f64 v[24:25], v[40:41], v[48:49], v[98:99]
	v_fma_f64 v[26:27], v[42:43], v[48:49], -v[50:51]
	;; [unrolled: 2-line block ×3, first 2 shown]
	s_waitcnt vmcnt(7)
	v_mul_f64 v[102:103], v[58:59], v[66:67]
	v_mul_f64 v[66:67], v[56:57], v[66:67]
	s_waitcnt vmcnt(6)
	v_mul_f64 v[104:105], v[62:63], v[70:71]
	v_mul_f64 v[70:71], v[60:61], v[70:71]
	s_waitcnt vmcnt(4)
	v_mul_f64 v[90:91], v[2:3], v[74:75]
	v_mul_f64 v[74:75], v[0:1], v[74:75]
	s_waitcnt vmcnt(2)
	v_mul_f64 v[92:93], v[78:79], v[82:83]
	v_mul_f64 v[12:13], v[76:77], v[82:83]
	v_fma_f64 v[32:33], v[56:57], v[64:65], v[102:103]
	v_fma_f64 v[34:35], v[58:59], v[64:65], -v[66:67]
	s_waitcnt vmcnt(0)
	v_mul_f64 v[14:15], v[86:87], v[6:7]
	v_mul_f64 v[16:17], v[84:85], v[6:7]
	v_fma_f64 v[6:7], v[60:61], v[68:69], v[104:105]
	v_fma_f64 v[8:9], v[62:63], v[68:69], -v[70:71]
	v_fma_f64 v[0:1], v[0:1], v[72:73], v[90:91]
	v_fma_f64 v[2:3], v[2:3], v[72:73], -v[74:75]
	v_fma_f64 v[10:11], v[76:77], v[80:81], v[92:93]
	v_fma_f64 v[12:13], v[78:79], v[80:81], -v[12:13]
	v_fma_f64 v[14:15], v[84:85], v[4:5], v[14:15]
	v_fma_f64 v[16:17], v[86:87], v[4:5], -v[16:17]
	ds_write_b128 v190, v[20:23] offset:5920
	ds_write_b128 v190, v[24:27] offset:7600
	;; [unrolled: 1-line block ×8, first 2 shown]
.LBB0_3:
	s_or_b64 exec, exec, s[14:15]
	s_waitcnt lgkmcnt(0)
	; wave barrier
	s_waitcnt lgkmcnt(0)
	ds_read_b128 v[72:75], v190
	ds_read_b128 v[84:87], v190 offset:1680
	ds_read_b128 v[76:79], v190 offset:3360
	;; [unrolled: 1-line block ×10, first 2 shown]
                                        ; implicit-def: $vgpr20_vgpr21
                                        ; implicit-def: $vgpr56_vgpr57
                                        ; implicit-def: $vgpr52_vgpr53
                                        ; implicit-def: $vgpr48_vgpr49
                                        ; implicit-def: $vgpr44_vgpr45
                                        ; implicit-def: $vgpr32_vgpr33
                                        ; implicit-def: $vgpr28_vgpr29
                                        ; implicit-def: $vgpr24_vgpr25
                                        ; implicit-def: $vgpr16_vgpr17
                                        ; implicit-def: $vgpr12_vgpr13
                                        ; implicit-def: $vgpr8_vgpr9
	s_and_saveexec_b64 s[0:1], vcc
	s_cbranch_execz .LBB0_5
; %bb.4:
	ds_read_b128 v[20:23], v190 offset:880
	ds_read_b128 v[56:59], v190 offset:2560
	;; [unrolled: 1-line block ×11, first 2 shown]
.LBB0_5:
	s_or_b64 exec, exec, s[0:1]
	s_waitcnt lgkmcnt(9)
	v_add_f64 v[90:91], v[72:73], v[84:85]
	v_add_f64 v[92:93], v[74:75], v[86:87]
	s_waitcnt lgkmcnt(0)
	v_add_f64 v[96:97], v[86:87], v[62:63]
	v_add_f64 v[86:87], v[86:87], -v[62:63]
	s_mov_b32 s20, 0x43842ef
	s_mov_b32 s24, 0xbb3a28a1
	;; [unrolled: 1-line block ×4, first 2 shown]
	v_add_f64 v[90:91], v[90:91], v[76:77]
	v_add_f64 v[92:93], v[92:93], v[78:79]
	;; [unrolled: 1-line block ×3, first 2 shown]
	v_add_f64 v[84:85], v[84:85], -v[60:61]
	v_mul_f64 v[106:107], v[86:87], s[20:21]
	v_mul_f64 v[110:111], v[86:87], s[24:25]
	s_mov_b32 s18, 0x640f44db
	s_mov_b32 s22, 0x7f775887
	v_add_f64 v[90:91], v[90:91], v[64:65]
	v_add_f64 v[92:93], v[92:93], v[66:67]
	s_mov_b32 s19, 0xbfc2375f
	s_mov_b32 s23, 0xbfe4f49e
	v_mul_f64 v[108:109], v[84:85], s[20:21]
	v_mul_f64 v[112:113], v[84:85], s[24:25]
	v_fma_f64 v[122:123], v[94:95], s[18:19], -v[106:107]
	v_fma_f64 v[126:127], v[94:95], s[22:23], -v[110:111]
	v_add_f64 v[90:91], v[90:91], v[36:37]
	v_add_f64 v[92:93], v[92:93], v[38:39]
	s_mov_b32 s14, 0xf8bb580b
	s_mov_b32 s15, 0xbfe14ced
	v_mul_f64 v[98:99], v[86:87], s[14:15]
	v_fma_f64 v[124:125], v[96:97], s[18:19], v[108:109]
	v_fma_f64 v[128:129], v[96:97], s[22:23], v[112:113]
	v_add_co_u32_e64 v192, s[0:1], 55, v217
	v_add_f64 v[90:91], v[90:91], v[0:1]
	v_add_f64 v[92:93], v[92:93], v[2:3]
	s_mov_b32 s0, 0x8764f0ba
	s_mov_b32 s28, 0x8eee2c13
	;; [unrolled: 1-line block ×6, first 2 shown]
	v_add_f64 v[90:91], v[90:91], v[4:5]
	v_add_f64 v[92:93], v[92:93], v[6:7]
	v_mul_f64 v[100:101], v[84:85], s[14:15]
	v_mul_f64 v[102:103], v[86:87], s[28:29]
	;; [unrolled: 1-line block ×3, first 2 shown]
	v_fma_f64 v[114:115], v[94:95], s[0:1], -v[98:99]
	v_fma_f64 v[98:99], v[94:95], s[0:1], v[98:99]
	v_mul_f64 v[86:87], v[86:87], s[34:35]
	v_add_f64 v[90:91], v[90:91], v[40:41]
	v_add_f64 v[92:93], v[92:93], v[42:43]
	v_mul_f64 v[84:85], v[84:85], s[34:35]
	s_load_dwordx2 s[12:13], s[4:5], 0x8
	s_mov_b32 s4, 0xd9c712b6
	s_mov_b32 s26, 0x9bcd5057
	s_mov_b32 s5, 0x3fda9628
	s_mov_b32 s27, 0xbfeeb42a
	v_add_f64 v[90:91], v[90:91], v[68:69]
	v_add_f64 v[92:93], v[92:93], v[70:71]
	v_fma_f64 v[116:117], v[96:97], s[0:1], v[100:101]
	v_fma_f64 v[100:101], v[96:97], s[0:1], -v[100:101]
	v_fma_f64 v[118:119], v[94:95], s[4:5], -v[102:103]
	v_fma_f64 v[120:121], v[96:97], s[4:5], v[104:105]
	v_fma_f64 v[102:103], v[94:95], s[4:5], v[102:103]
	v_fma_f64 v[104:105], v[96:97], s[4:5], -v[104:105]
	v_add_f64 v[90:91], v[90:91], v[80:81]
	v_add_f64 v[92:93], v[92:93], v[82:83]
	v_fma_f64 v[106:107], v[94:95], s[18:19], v[106:107]
	v_fma_f64 v[108:109], v[96:97], s[18:19], -v[108:109]
	v_add_f64 v[114:115], v[72:73], v[114:115]
	v_add_f64 v[98:99], v[72:73], v[98:99]
	;; [unrolled: 4-line block ×3, first 2 shown]
	v_add_f64 v[122:123], v[72:73], v[126:127]
	v_add_f64 v[126:127], v[78:79], -v[82:83]
	v_add_f64 v[62:63], v[92:93], v[62:63]
	v_add_f64 v[92:93], v[74:75], v[124:125]
	;; [unrolled: 1-line block ×3, first 2 shown]
	v_add_f64 v[128:129], v[76:77], -v[80:81]
	v_add_f64 v[76:77], v[76:77], v[80:81]
	v_fma_f64 v[130:131], v[94:95], s[26:27], -v[86:87]
	v_fma_f64 v[132:133], v[96:97], s[26:27], v[84:85]
	v_mul_f64 v[80:81], v[126:127], s[28:29]
	v_add_f64 v[78:79], v[78:79], v[82:83]
	v_mul_f64 v[134:135], v[126:127], s[24:25]
	v_fma_f64 v[86:87], v[94:95], s[26:27], v[86:87]
	v_mul_f64 v[82:83], v[128:129], s[28:29]
	v_fma_f64 v[84:85], v[96:97], s[26:27], -v[84:85]
	s_mov_b32 s31, 0x3fd207e7
	s_mov_b32 s30, s34
	v_fma_f64 v[94:95], v[76:77], s[4:5], -v[80:81]
	v_fma_f64 v[80:81], v[76:77], s[4:5], v[80:81]
	s_mov_b32 s39, 0x3fefac9e
	s_mov_b32 s38, s20
	v_add_f64 v[116:117], v[74:75], v[116:117]
	v_add_f64 v[100:101], v[74:75], v[100:101]
	;; [unrolled: 1-line block ×8, first 2 shown]
	v_mul_f64 v[136:137], v[128:129], s[24:25]
	v_fma_f64 v[96:97], v[78:79], s[4:5], v[82:83]
	v_fma_f64 v[82:83], v[78:79], s[4:5], -v[82:83]
	v_fma_f64 v[138:139], v[76:77], s[22:23], -v[134:135]
	v_add_f64 v[74:75], v[74:75], v[84:85]
	v_add_f64 v[84:85], v[94:95], v[114:115]
	;; [unrolled: 1-line block ×3, first 2 shown]
	v_mul_f64 v[98:99], v[126:127], s[30:31]
	v_mul_f64 v[114:115], v[126:127], s[38:39]
	v_add_f64 v[102:103], v[72:73], v[102:103]
	v_add_f64 v[106:107], v[72:73], v[106:107]
	;; [unrolled: 1-line block ×4, first 2 shown]
	v_fma_f64 v[140:141], v[78:79], s[22:23], v[136:137]
	v_add_f64 v[72:73], v[72:73], v[86:87]
	v_add_f64 v[86:87], v[96:97], v[116:117]
	;; [unrolled: 1-line block ×4, first 2 shown]
	v_mul_f64 v[100:101], v[128:129], s[30:31]
	v_mul_f64 v[116:117], v[128:129], s[38:39]
	v_fma_f64 v[118:119], v[76:77], s[22:23], v[134:135]
	v_fma_f64 v[134:135], v[76:77], s[26:27], -v[98:99]
	v_fma_f64 v[98:99], v[76:77], s[26:27], v[98:99]
	v_fma_f64 v[138:139], v[76:77], s[18:19], -v[114:115]
	s_mov_b32 s43, 0x3fe14ced
	s_mov_b32 s42, s14
	v_add_f64 v[96:97], v[140:141], v[120:121]
	v_fma_f64 v[120:121], v[78:79], s[22:23], -v[136:137]
	v_fma_f64 v[136:137], v[78:79], s[26:27], v[100:101]
	v_fma_f64 v[100:101], v[78:79], s[26:27], -v[100:101]
	v_fma_f64 v[140:141], v[78:79], s[18:19], v[116:117]
	v_add_f64 v[102:103], v[118:119], v[102:103]
	v_add_f64 v[98:99], v[98:99], v[106:107]
	;; [unrolled: 1-line block ×3, first 2 shown]
	v_add_f64 v[118:119], v[66:67], -v[70:71]
	v_mul_f64 v[122:123], v[126:127], s[42:43]
	v_add_f64 v[104:105], v[120:121], v[104:105]
	v_add_f64 v[100:101], v[100:101], v[108:109]
	;; [unrolled: 1-line block ×3, first 2 shown]
	v_add_f64 v[120:121], v[64:65], -v[68:69]
	v_mul_f64 v[124:125], v[128:129], s[42:43]
	v_fma_f64 v[114:115], v[76:77], s[18:19], v[114:115]
	v_add_f64 v[64:65], v[64:65], v[68:69]
	v_mul_f64 v[68:69], v[118:119], s[20:21]
	v_fma_f64 v[126:127], v[76:77], s[0:1], -v[122:123]
	v_fma_f64 v[116:117], v[78:79], s[18:19], -v[116:117]
	v_add_f64 v[66:67], v[66:67], v[70:71]
	v_mul_f64 v[70:71], v[120:121], s[20:21]
	v_fma_f64 v[128:129], v[78:79], s[0:1], v[124:125]
	v_add_f64 v[110:111], v[114:115], v[110:111]
	v_fma_f64 v[76:77], v[76:77], s[0:1], v[122:123]
	v_fma_f64 v[114:115], v[64:65], s[18:19], -v[68:69]
	v_add_f64 v[122:123], v[126:127], v[130:131]
	v_mul_f64 v[126:127], v[118:119], s[30:31]
	s_mov_b32 s37, 0x3fed1bb4
	s_mov_b32 s36, s28
	v_add_f64 v[112:113], v[116:117], v[112:113]
	v_fma_f64 v[78:79], v[78:79], s[0:1], -v[124:125]
	v_fma_f64 v[116:117], v[66:67], s[18:19], v[70:71]
	v_add_f64 v[124:125], v[128:129], v[132:133]
	v_mul_f64 v[128:129], v[120:121], s[30:31]
	v_add_f64 v[72:73], v[76:77], v[72:73]
	v_add_f64 v[76:77], v[114:115], v[84:85]
	v_fma_f64 v[68:69], v[64:65], s[18:19], v[68:69]
	v_fma_f64 v[84:85], v[64:65], s[26:27], -v[126:127]
	v_mul_f64 v[114:115], v[118:119], s[36:37]
	v_add_f64 v[90:91], v[134:135], v[90:91]
	v_add_f64 v[74:75], v[78:79], v[74:75]
	;; [unrolled: 1-line block ×3, first 2 shown]
	v_fma_f64 v[70:71], v[66:67], s[18:19], -v[70:71]
	v_fma_f64 v[86:87], v[66:67], s[26:27], v[128:129]
	v_mul_f64 v[116:117], v[120:121], s[36:37]
	v_add_f64 v[68:69], v[68:69], v[80:81]
	v_add_f64 v[80:81], v[84:85], v[94:95]
	v_fma_f64 v[84:85], v[64:65], s[26:27], v[126:127]
	v_fma_f64 v[94:95], v[64:65], s[4:5], -v[114:115]
	v_mul_f64 v[126:127], v[118:119], s[14:15]
	v_add_f64 v[92:93], v[136:137], v[92:93]
	v_add_f64 v[70:71], v[70:71], v[82:83]
	;; [unrolled: 1-line block ×3, first 2 shown]
	v_fma_f64 v[86:87], v[66:67], s[26:27], -v[128:129]
	v_fma_f64 v[96:97], v[66:67], s[4:5], v[116:117]
	v_mul_f64 v[128:129], v[120:121], s[14:15]
	v_fma_f64 v[114:115], v[64:65], s[4:5], v[114:115]
	v_add_f64 v[90:91], v[94:95], v[90:91]
	v_fma_f64 v[94:95], v[64:65], s[0:1], -v[126:127]
	v_fma_f64 v[116:117], v[66:67], s[4:5], -v[116:117]
	v_add_f64 v[84:85], v[84:85], v[102:103]
	v_fma_f64 v[102:103], v[64:65], s[0:1], v[126:127]
	v_add_f64 v[92:93], v[96:97], v[92:93]
	v_fma_f64 v[96:97], v[66:67], s[0:1], v[128:129]
	v_add_f64 v[98:99], v[114:115], v[98:99]
	v_mul_f64 v[114:115], v[118:119], s[24:25]
	v_add_f64 v[94:95], v[94:95], v[106:107]
	v_add_f64 v[106:107], v[38:39], -v[42:43]
	v_add_f64 v[86:87], v[86:87], v[104:105]
	v_add_f64 v[100:101], v[116:117], v[100:101]
	v_fma_f64 v[104:105], v[66:67], s[0:1], -v[128:129]
	v_mul_f64 v[116:117], v[120:121], s[24:25]
	v_add_f64 v[96:97], v[96:97], v[108:109]
	v_add_f64 v[108:109], v[36:37], -v[40:41]
	v_add_f64 v[102:103], v[102:103], v[110:111]
	v_fma_f64 v[110:111], v[64:65], s[22:23], -v[114:115]
	v_add_f64 v[36:37], v[36:37], v[40:41]
	v_mul_f64 v[40:41], v[106:107], s[24:25]
	v_fma_f64 v[64:65], v[64:65], s[22:23], v[114:115]
	v_mul_f64 v[114:115], v[106:107], s[38:39]
	v_add_f64 v[104:105], v[104:105], v[112:113]
	v_fma_f64 v[112:113], v[66:67], s[22:23], v[116:117]
	v_add_f64 v[38:39], v[38:39], v[42:43]
	v_mul_f64 v[42:43], v[108:109], s[24:25]
	v_fma_f64 v[66:67], v[66:67], s[22:23], -v[116:117]
	v_mul_f64 v[116:117], v[108:109], s[38:39]
	v_fma_f64 v[118:119], v[36:37], s[22:23], -v[40:41]
	v_add_f64 v[64:65], v[64:65], v[72:73]
	v_fma_f64 v[40:41], v[36:37], s[22:23], v[40:41]
	v_fma_f64 v[72:73], v[36:37], s[18:19], -v[114:115]
	v_add_f64 v[164:165], v[54:55], -v[14:15]
	v_fma_f64 v[120:121], v[38:39], s[22:23], v[42:43]
	v_add_f64 v[66:67], v[66:67], v[74:75]
	v_fma_f64 v[42:43], v[38:39], s[22:23], -v[42:43]
	v_fma_f64 v[74:75], v[38:39], s[18:19], v[116:117]
	v_add_f64 v[76:77], v[118:119], v[76:77]
	v_mul_f64 v[118:119], v[106:107], s[14:15]
	v_add_f64 v[40:41], v[40:41], v[68:69]
	v_add_f64 v[68:69], v[72:73], v[80:81]
	v_fma_f64 v[72:73], v[36:37], s[18:19], v[114:115]
	v_mul_f64 v[114:115], v[106:107], s[34:35]
	v_add_f64 v[78:79], v[120:121], v[78:79]
	v_mul_f64 v[120:121], v[108:109], s[14:15]
	v_add_f64 v[42:43], v[42:43], v[70:71]
	v_add_f64 v[70:71], v[74:75], v[82:83]
	v_fma_f64 v[74:75], v[38:39], s[18:19], -v[116:117]
	v_fma_f64 v[80:81], v[36:37], s[0:1], -v[118:119]
	v_mul_f64 v[116:117], v[108:109], s[34:35]
	v_fma_f64 v[118:119], v[36:37], s[0:1], v[118:119]
	v_add_f64 v[72:73], v[72:73], v[84:85]
	v_fma_f64 v[84:85], v[36:37], s[26:27], -v[114:115]
	v_fma_f64 v[82:83], v[38:39], s[0:1], v[120:121]
	v_fma_f64 v[120:121], v[38:39], s[0:1], -v[120:121]
	v_add_f64 v[74:75], v[74:75], v[86:87]
	v_add_f64 v[80:81], v[80:81], v[90:91]
	v_fma_f64 v[86:87], v[38:39], s[26:27], v[116:117]
	v_add_f64 v[90:91], v[118:119], v[98:99]
	v_mul_f64 v[98:99], v[106:107], s[36:37]
	v_add_f64 v[84:85], v[84:85], v[94:95]
	v_add_f64 v[94:95], v[2:3], -v[6:7]
	v_add_f64 v[82:83], v[82:83], v[92:93]
	v_add_f64 v[92:93], v[120:121], v[100:101]
	v_mul_f64 v[100:101], v[108:109], s[36:37]
	v_fma_f64 v[106:107], v[36:37], s[26:27], v[114:115]
	v_add_f64 v[86:87], v[86:87], v[96:97]
	v_add_f64 v[96:97], v[0:1], -v[4:5]
	v_fma_f64 v[114:115], v[36:37], s[4:5], -v[98:99]
	v_add_f64 v[0:1], v[0:1], v[4:5]
	v_mul_f64 v[4:5], v[94:95], s[34:35]
	v_fma_f64 v[36:37], v[36:37], s[4:5], v[98:99]
	v_mul_f64 v[98:99], v[94:95], s[42:43]
	v_fma_f64 v[108:109], v[38:39], s[26:27], -v[116:117]
	v_fma_f64 v[116:117], v[38:39], s[4:5], v[100:101]
	v_add_f64 v[102:103], v[106:107], v[102:103]
	v_add_f64 v[2:3], v[2:3], v[6:7]
	v_mul_f64 v[6:7], v[96:97], s[34:35]
	v_fma_f64 v[38:39], v[38:39], s[4:5], -v[100:101]
	v_mul_f64 v[100:101], v[96:97], s[42:43]
	v_fma_f64 v[106:107], v[0:1], s[26:27], -v[4:5]
	v_fma_f64 v[4:5], v[0:1], s[26:27], v[4:5]
	v_add_f64 v[160:161], v[36:37], v[64:65]
	v_fma_f64 v[64:65], v[0:1], s[0:1], -v[98:99]
	v_add_f64 v[104:105], v[108:109], v[104:105]
	v_fma_f64 v[108:109], v[2:3], s[26:27], v[6:7]
	v_fma_f64 v[6:7], v[2:3], s[26:27], -v[6:7]
	v_add_f64 v[162:163], v[38:39], v[66:67]
	v_fma_f64 v[66:67], v[2:3], s[0:1], v[100:101]
	v_add_f64 v[36:37], v[106:107], v[76:77]
	v_add_f64 v[40:41], v[4:5], v[40:41]
	v_mul_f64 v[4:5], v[94:95], s[24:25]
	v_add_f64 v[64:65], v[64:65], v[68:69]
	v_fma_f64 v[68:69], v[0:1], s[0:1], v[98:99]
	v_mul_f64 v[76:77], v[94:95], s[36:37]
	v_add_f64 v[38:39], v[108:109], v[78:79]
	v_add_f64 v[42:43], v[6:7], v[42:43]
	v_mul_f64 v[6:7], v[96:97], s[24:25]
	v_add_f64 v[66:67], v[66:67], v[70:71]
	v_fma_f64 v[70:71], v[2:3], s[0:1], -v[100:101]
	v_mul_f64 v[78:79], v[96:97], s[36:37]
	v_fma_f64 v[98:99], v[0:1], s[22:23], -v[4:5]
	v_add_f64 v[130:131], v[68:69], v[72:73]
	v_fma_f64 v[68:69], v[0:1], s[4:5], -v[76:77]
	v_fma_f64 v[4:5], v[0:1], s[22:23], v[4:5]
	v_fma_f64 v[100:101], v[2:3], s[22:23], v[6:7]
	v_fma_f64 v[6:7], v[2:3], s[22:23], -v[6:7]
	v_add_f64 v[132:133], v[70:71], v[74:75]
	v_fma_f64 v[70:71], v[2:3], s[4:5], v[78:79]
	v_add_f64 v[136:137], v[98:99], v[80:81]
	v_add_f64 v[98:99], v[56:57], -v[8:9]
	v_add_f64 v[144:145], v[68:69], v[84:85]
	v_add_f64 v[68:69], v[58:59], -v[10:11]
	v_add_f64 v[140:141], v[4:5], v[90:91]
	v_add_f64 v[142:143], v[6:7], v[92:93]
	v_fma_f64 v[4:5], v[0:1], s[4:5], v[76:77]
	v_fma_f64 v[6:7], v[2:3], s[4:5], -v[78:79]
	v_add_f64 v[146:147], v[70:71], v[86:87]
	v_mul_f64 v[76:77], v[94:95], s[20:21]
	v_mul_f64 v[78:79], v[96:97], s[20:21]
	v_add_f64 v[92:93], v[56:57], v[8:9]
	v_add_f64 v[70:71], v[58:59], v[10:11]
	v_mul_f64 v[72:73], v[68:69], s[14:15]
	v_mul_f64 v[74:75], v[98:99], s[14:15]
	v_add_f64 v[118:119], v[52:53], -v[12:13]
	v_add_f64 v[110:111], v[110:111], v[122:123]
	v_add_f64 v[112:113], v[112:113], v[124:125]
	;; [unrolled: 1-line block ×5, first 2 shown]
	v_fma_f64 v[4:5], v[0:1], s[18:19], -v[76:77]
	v_fma_f64 v[6:7], v[2:3], s[18:19], v[78:79]
	v_fma_f64 v[0:1], v[0:1], s[18:19], v[76:77]
	v_fma_f64 v[2:3], v[2:3], s[18:19], -v[78:79]
	v_fma_f64 v[84:85], v[92:93], s[0:1], v[72:73]
	v_fma_f64 v[86:87], v[70:71], s[0:1], -v[74:75]
	v_mul_f64 v[80:81], v[68:69], s[28:29]
	v_mul_f64 v[82:83], v[98:99], s[28:29]
	v_add_f64 v[102:103], v[52:53], v[12:13]
	v_add_f64 v[180:181], v[54:55], v[14:15]
	v_mul_f64 v[76:77], v[164:165], s[28:29]
	v_mul_f64 v[78:79], v[118:119], s[28:29]
	v_add_f64 v[168:169], v[50:51], -v[18:19]
	v_add_f64 v[124:125], v[48:49], -v[16:17]
	v_add_f64 v[152:153], v[114:115], v[110:111]
	v_add_f64 v[158:159], v[116:117], v[112:113]
	;; [unrolled: 1-line block ×4, first 2 shown]
	v_fma_f64 v[100:101], v[92:93], s[4:5], v[80:81]
	v_fma_f64 v[104:105], v[70:71], s[4:5], -v[82:83]
	v_fma_f64 v[106:107], v[102:103], s[4:5], v[76:77]
	v_fma_f64 v[110:111], v[180:181], s[4:5], -v[78:79]
	v_mul_f64 v[90:91], v[164:165], s[24:25]
	v_mul_f64 v[108:109], v[118:119], s[24:25]
	v_add_f64 v[112:113], v[48:49], v[16:17]
	v_add_f64 v[184:185], v[50:51], v[18:19]
	v_mul_f64 v[84:85], v[168:169], s[20:21]
	v_mul_f64 v[86:87], v[124:125], s[20:21]
	v_add_f64 v[100:101], v[20:21], v[100:101]
	v_add_f64 v[104:105], v[22:23], v[104:105]
	v_fma_f64 v[114:115], v[102:103], s[22:23], v[90:91]
	v_fma_f64 v[120:121], v[180:181], s[22:23], -v[108:109]
	v_add_f64 v[106:107], v[106:107], v[94:95]
	v_add_f64 v[96:97], v[110:111], v[96:97]
	v_fma_f64 v[110:111], v[112:113], s[18:19], v[84:85]
	v_fma_f64 v[122:123], v[184:185], s[18:19], -v[86:87]
	v_mul_f64 v[94:95], v[168:169], s[30:31]
	v_mul_f64 v[116:117], v[124:125], s[30:31]
	v_add_f64 v[178:179], v[46:47], -v[26:27]
	v_add_f64 v[134:135], v[44:45], -v[24:25]
	v_add_f64 v[114:115], v[114:115], v[100:101]
	v_add_f64 v[126:127], v[120:121], v[104:105]
	;; [unrolled: 1-line block ×4, first 2 shown]
	v_fma_f64 v[106:107], v[112:113], s[26:27], v[94:95]
	v_fma_f64 v[110:111], v[184:185], s[26:27], -v[116:117]
	v_add_f64 v[122:123], v[44:45], v[24:25]
	v_add_f64 v[186:187], v[46:47], v[26:27]
	v_mul_f64 v[96:97], v[178:179], s[24:25]
	v_mul_f64 v[100:101], v[134:135], s[24:25]
	;; [unrolled: 1-line block ×4, first 2 shown]
	v_add_f64 v[182:183], v[34:35], -v[30:31]
	v_add_f64 v[154:155], v[32:33], -v[28:29]
	v_add_f64 v[170:171], v[106:107], v[114:115]
	v_add_f64 v[172:173], v[110:111], v[126:127]
	v_fma_f64 v[174:175], v[122:123], s[22:23], v[96:97]
	v_fma_f64 v[176:177], v[186:187], s[22:23], -v[100:101]
	v_fma_f64 v[193:194], v[122:123], s[18:19], v[104:105]
	v_fma_f64 v[195:196], v[186:187], s[18:19], -v[120:121]
	v_add_f64 v[128:129], v[32:33], v[28:29]
	v_add_f64 v[188:189], v[34:35], v[30:31]
	v_mul_f64 v[106:107], v[182:183], s[34:35]
	v_mul_f64 v[110:111], v[154:155], s[34:35]
	;; [unrolled: 1-line block ×4, first 2 shown]
	v_add_f64 v[174:175], v[174:175], v[156:157]
	v_add_f64 v[166:167], v[176:177], v[166:167]
	;; [unrolled: 1-line block ×4, first 2 shown]
	v_fma_f64 v[176:177], v[128:129], s[26:27], v[106:107]
	v_fma_f64 v[193:194], v[188:189], s[26:27], -v[110:111]
	v_fma_f64 v[195:196], v[128:129], s[0:1], v[114:115]
	v_fma_f64 v[197:198], v[188:189], s[0:1], -v[126:127]
	v_add_f64 v[156:157], v[4:5], v[152:153]
	v_add_f64 v[158:159], v[6:7], v[158:159]
	;; [unrolled: 1-line block ×8, first 2 shown]
	v_mul_lo_u16_e32 v152, 11, v217
	v_lshlrev_b32_e32 v191, 4, v152
	s_waitcnt lgkmcnt(0)
	; wave barrier
	s_waitcnt lgkmcnt(0)
	ds_write_b128 v191, v[60:63]
	ds_write_b128 v191, v[36:39] offset:16
	ds_write_b128 v191, v[64:67] offset:32
	;; [unrolled: 1-line block ×10, first 2 shown]
	v_mul_u32_u24_e32 v36, 11, v192
	buffer_store_dword v36, off, s[48:51], 0 offset:644 ; 4-byte Folded Spill
	s_and_saveexec_b64 s[40:41], vcc
	s_cbranch_execz .LBB0_7
; %bb.6:
	v_mul_f64 v[193:194], v[70:71], s[26:27]
	v_mul_f64 v[64:65], v[180:181], s[0:1]
	;; [unrolled: 1-line block ×4, first 2 shown]
	s_mov_b32 s45, 0x3fe82f19
	s_mov_b32 s44, s24
	v_mul_f64 v[42:43], v[186:187], s[4:5]
	v_mul_f64 v[201:202], v[164:165], s[42:43]
	v_fma_f64 v[195:196], v[98:99], s[30:31], v[193:194]
	v_fma_f64 v[193:194], v[98:99], s[34:35], v[193:194]
	;; [unrolled: 1-line block ×7, first 2 shown]
	v_mul_f64 v[40:41], v[188:189], s[18:19]
	v_add_f64 v[195:196], v[22:23], v[195:196]
	v_add_f64 v[193:194], v[22:23], v[193:194]
	v_fma_f64 v[38:39], v[134:135], s[28:29], v[42:43]
	v_mul_f64 v[197:198], v[168:169], s[24:25]
	v_fma_f64 v[203:204], v[102:103], s[0:1], v[201:202]
	v_add_f64 v[207:208], v[20:21], v[207:208]
	v_fma_f64 v[42:43], v[134:135], s[36:37], v[42:43]
	v_fma_f64 v[36:37], v[154:155], s[38:39], v[40:41]
	v_add_f64 v[66:67], v[66:67], v[195:196]
	v_add_f64 v[64:65], v[64:65], v[193:194]
	v_fma_f64 v[40:41], v[154:155], s[20:21], v[40:41]
	v_fma_f64 v[199:200], v[112:113], s[22:23], v[197:198]
	v_mul_f64 v[138:139], v[70:71], s[0:1]
	v_add_f64 v[203:204], v[203:204], v[207:208]
	v_mul_f64 v[160:161], v[70:71], s[4:5]
	v_mul_f64 v[213:214], v[68:69], s[24:25]
	v_add_f64 v[62:63], v[62:63], v[66:67]
	v_add_f64 v[60:61], v[60:61], v[64:65]
	v_mul_f64 v[66:67], v[178:179], s[36:37]
	v_fma_f64 v[64:65], v[102:103], s[0:1], -v[201:202]
	v_mul_f64 v[201:202], v[70:71], s[22:23]
	v_add_f64 v[199:200], v[199:200], v[203:204]
	v_add_f64 v[82:83], v[82:83], v[160:161]
	;; [unrolled: 1-line block ×4, first 2 shown]
	v_mul_f64 v[62:63], v[182:183], s[20:21]
	v_add_f64 v[42:43], v[42:43], v[60:61]
	v_fma_f64 v[195:196], v[122:123], s[4:5], v[66:67]
	v_fma_f64 v[203:204], v[98:99], s[44:45], v[201:202]
	v_fma_f64 v[201:202], v[98:99], s[24:25], v[201:202]
	v_add_f64 v[82:83], v[22:23], v[82:83]
	v_add_f64 v[74:75], v[22:23], v[74:75]
	;; [unrolled: 1-line block ×3, first 2 shown]
	v_fma_f64 v[36:37], v[128:129], s[18:19], v[62:63]
	v_add_f64 v[42:43], v[40:41], v[42:43]
	v_fma_f64 v[40:41], v[128:129], s[18:19], -v[62:63]
	v_fma_f64 v[62:63], v[112:113], s[22:23], -v[197:198]
	v_mul_f64 v[197:198], v[180:181], s[18:19]
	v_add_f64 v[195:196], v[195:196], v[199:200]
	v_add_f64 v[201:202], v[22:23], v[201:202]
	;; [unrolled: 1-line block ×3, first 2 shown]
	v_fma_f64 v[60:61], v[122:123], s[4:5], -v[66:67]
	v_fma_f64 v[66:67], v[92:93], s[26:27], -v[205:206]
	v_mul_f64 v[193:194], v[184:185], s[0:1]
	v_mul_f64 v[209:210], v[164:165], s[38:39]
	v_fma_f64 v[199:200], v[118:119], s[20:21], v[197:198]
	v_fma_f64 v[197:198], v[118:119], s[38:39], v[197:198]
	;; [unrolled: 1-line block ×3, first 2 shown]
	v_add_f64 v[36:37], v[36:37], v[195:196]
	v_mul_f64 v[205:206], v[168:169], s[14:15]
	v_add_f64 v[66:67], v[20:21], v[66:67]
	v_fma_f64 v[195:196], v[124:125], s[42:43], v[193:194]
	v_fma_f64 v[211:212], v[102:103], s[18:19], v[209:210]
	v_add_f64 v[199:200], v[199:200], v[203:204]
	v_add_f64 v[197:198], v[197:198], v[201:202]
	v_mul_f64 v[201:202], v[70:71], s[18:19]
	v_add_f64 v[215:216], v[20:21], v[215:216]
	v_fma_f64 v[207:208], v[112:113], s[0:1], v[205:206]
	v_add_f64 v[64:65], v[64:65], v[66:67]
	v_mul_f64 v[66:67], v[186:187], s[26:27]
	v_fma_f64 v[193:194], v[124:125], s[14:15], v[193:194]
	v_add_f64 v[195:196], v[195:196], v[199:200]
	v_mul_f64 v[199:200], v[178:179], s[34:35]
	v_fma_f64 v[70:71], v[98:99], s[38:39], v[201:202]
	v_fma_f64 v[98:99], v[98:99], s[20:21], v[201:202]
	v_add_f64 v[211:212], v[211:212], v[215:216]
	v_add_f64 v[62:63], v[62:63], v[64:65]
	v_mul_f64 v[64:65], v[188:189], s[4:5]
	v_add_f64 v[193:194], v[193:194], v[197:198]
	v_mul_f64 v[142:143], v[180:181], s[4:5]
	v_fma_f64 v[203:204], v[122:123], s[26:27], v[199:200]
	v_add_f64 v[70:71], v[22:23], v[70:71]
	v_add_f64 v[98:99], v[22:23], v[98:99]
	;; [unrolled: 1-line block ×4, first 2 shown]
	v_fma_f64 v[62:63], v[134:135], s[30:31], v[66:67]
	v_add_f64 v[207:208], v[207:208], v[211:212]
	v_fma_f64 v[66:67], v[134:135], s[34:35], v[66:67]
	v_mul_f64 v[170:171], v[180:181], s[22:23]
	v_fma_f64 v[197:198], v[102:103], s[18:19], -v[209:210]
	v_mul_f64 v[180:181], v[180:181], s[26:27]
	v_add_f64 v[22:23], v[22:23], v[54:55]
	v_add_f64 v[40:41], v[40:41], v[60:61]
	v_fma_f64 v[60:61], v[154:155], s[28:29], v[64:65]
	v_add_f64 v[62:63], v[62:63], v[195:196]
	v_mul_f64 v[195:196], v[182:183], s[36:37]
	v_add_f64 v[203:204], v[203:204], v[207:208]
	v_add_f64 v[66:67], v[66:67], v[193:194]
	v_fma_f64 v[193:194], v[122:123], s[26:27], -v[199:200]
	v_add_f64 v[22:23], v[22:23], v[50:51]
	v_fma_f64 v[199:200], v[92:93], s[22:23], -v[213:214]
	v_fma_f64 v[64:65], v[154:155], s[36:37], v[64:65]
	v_add_f64 v[62:63], v[60:61], v[62:63]
	v_fma_f64 v[60:61], v[128:129], s[4:5], v[195:196]
	v_mul_f64 v[130:131], v[92:93], s[0:1]
	v_mul_f64 v[148:149], v[92:93], s[4:5]
	;; [unrolled: 1-line block ×3, first 2 shown]
	v_add_f64 v[22:23], v[22:23], v[46:47]
	v_add_f64 v[199:200], v[20:21], v[199:200]
	v_mul_f64 v[172:173], v[184:185], s[26:27]
	v_add_f64 v[66:67], v[64:65], v[66:67]
	v_add_f64 v[60:61], v[60:61], v[203:204]
	v_mul_f64 v[203:204], v[68:69], s[20:21]
	v_fma_f64 v[64:65], v[128:129], s[4:5], -v[195:196]
	v_fma_f64 v[195:196], v[112:113], s[0:1], -v[205:206]
	v_add_f64 v[22:23], v[22:23], v[34:35]
	v_add_f64 v[197:198], v[197:198], v[199:200]
	v_mul_f64 v[184:185], v[184:185], s[4:5]
	v_fma_f64 v[199:200], v[118:119], s[34:35], v[180:181]
	v_mul_f64 v[164:165], v[164:165], s[30:31]
	v_fma_f64 v[68:69], v[92:93], s[18:19], v[203:204]
	v_fma_f64 v[118:119], v[118:119], s[30:31], v[180:181]
	v_fma_f64 v[92:93], v[92:93], s[18:19], -v[203:204]
	v_add_f64 v[22:23], v[22:23], v[30:31]
	v_mul_f64 v[132:133], v[102:103], s[4:5]
	v_mul_f64 v[152:153], v[102:103], s[22:23]
	;; [unrolled: 1-line block ×4, first 2 shown]
	v_add_f64 v[195:196], v[195:196], v[197:198]
	v_mul_f64 v[186:187], v[186:187], s[0:1]
	v_fma_f64 v[197:198], v[124:125], s[28:29], v[184:185]
	v_add_f64 v[22:23], v[22:23], v[26:27]
	v_add_f64 v[70:71], v[199:200], v[70:71]
	v_mul_f64 v[168:169], v[168:169], s[36:37]
	v_fma_f64 v[199:200], v[102:103], s[26:27], v[164:165]
	v_fma_f64 v[124:125], v[124:125], s[36:37], v[184:185]
	v_add_f64 v[98:99], v[118:119], v[98:99]
	v_fma_f64 v[102:103], v[102:103], s[26:27], -v[164:165]
	v_add_f64 v[92:93], v[20:21], v[92:93]
	v_add_f64 v[18:19], v[22:23], v[18:19]
	v_mul_f64 v[136:137], v[112:113], s[18:19]
	v_mul_f64 v[158:159], v[112:113], s[26:27]
	v_mul_f64 v[156:157], v[188:189], s[26:27]
	v_mul_f64 v[176:177], v[188:189], s[0:1]
	v_add_f64 v[193:194], v[193:194], v[195:196]
	v_mul_f64 v[188:189], v[188:189], s[22:23]
	v_fma_f64 v[195:196], v[134:135], s[42:43], v[186:187]
	v_add_f64 v[14:15], v[18:19], v[14:15]
	v_add_f64 v[70:71], v[197:198], v[70:71]
	v_mul_f64 v[178:179], v[178:179], s[14:15]
	v_fma_f64 v[197:198], v[112:113], s[4:5], v[168:169]
	v_fma_f64 v[134:135], v[134:135], s[14:15], v[186:187]
	v_add_f64 v[98:99], v[124:125], v[98:99]
	v_fma_f64 v[112:113], v[112:113], s[4:5], -v[168:169]
	v_add_f64 v[92:93], v[102:103], v[92:93]
	v_add_f64 v[10:11], v[14:15], v[10:11]
	;; [unrolled: 1-line block ×4, first 2 shown]
	v_fma_f64 v[193:194], v[154:155], s[44:45], v[188:189]
	v_mul_f64 v[182:183], v[182:183], s[24:25]
	v_fma_f64 v[154:155], v[154:155], s[24:25], v[188:189]
	v_add_f64 v[98:99], v[134:135], v[98:99]
	v_fma_f64 v[118:119], v[122:123], s[0:1], -v[178:179]
	v_add_f64 v[92:93], v[112:113], v[92:93]
	v_add_f64 v[14:15], v[14:15], v[52:53]
	;; [unrolled: 1-line block ×3, first 2 shown]
	v_add_f64 v[80:81], v[148:149], -v[80:81]
	v_add_f64 v[102:103], v[116:117], v[172:173]
	v_add_f64 v[90:91], v[152:153], -v[90:91]
	v_add_f64 v[124:125], v[154:155], v[98:99]
	v_fma_f64 v[98:99], v[128:129], s[22:23], -v[182:183]
	v_add_f64 v[92:93], v[118:119], v[92:93]
	v_add_f64 v[14:15], v[14:15], v[48:49]
	;; [unrolled: 1-line block ×4, first 2 shown]
	v_mul_f64 v[140:141], v[122:123], s[22:23]
	v_mul_f64 v[162:163], v[122:123], s[18:19]
	v_add_f64 v[70:71], v[195:196], v[70:71]
	v_fma_f64 v[195:196], v[122:123], s[0:1], v[178:179]
	v_add_f64 v[122:123], v[98:99], v[92:93]
	v_add_f64 v[14:15], v[14:15], v[44:45]
	;; [unrolled: 1-line block ×4, first 2 shown]
	v_add_f64 v[94:95], v[158:159], -v[94:95]
	v_add_f64 v[80:81], v[90:91], v[80:81]
	v_add_f64 v[72:73], v[130:131], -v[72:73]
	v_mul_f64 v[166:167], v[128:129], s[0:1]
	v_add_f64 v[92:93], v[126:127], v[176:177]
	v_add_f64 v[14:15], v[14:15], v[32:33]
	;; [unrolled: 1-line block ×4, first 2 shown]
	v_add_f64 v[98:99], v[162:163], -v[104:105]
	v_add_f64 v[80:81], v[94:95], v[80:81]
	v_add_f64 v[76:77], v[132:133], -v[76:77]
	v_add_f64 v[72:73], v[20:21], v[72:73]
	v_add_f64 v[68:69], v[20:21], v[68:69]
	;; [unrolled: 1-line block ×5, first 2 shown]
	v_add_f64 v[92:93], v[166:167], -v[114:115]
	v_add_f64 v[80:81], v[98:99], v[80:81]
	v_add_f64 v[74:75], v[78:79], v[74:75]
	v_add_f64 v[84:85], v[136:137], -v[84:85]
	v_add_f64 v[72:73], v[76:77], v[72:73]
	v_add_f64 v[14:15], v[14:15], v[24:25]
	;; [unrolled: 1-line block ×3, first 2 shown]
	v_mul_f64 v[144:145], v[128:129], s[26:27]
	v_add_f64 v[90:91], v[110:111], v[156:157]
	v_add_f64 v[80:81], v[92:93], v[80:81]
	;; [unrolled: 1-line block ×4, first 2 shown]
	v_add_f64 v[86:87], v[140:141], -v[96:97]
	v_add_f64 v[14:15], v[14:15], v[16:17]
	v_add_f64 v[72:73], v[84:85], v[72:73]
	;; [unrolled: 1-line block ×3, first 2 shown]
	v_add_f64 v[78:79], v[144:145], -v[106:107]
	v_add_f64 v[70:71], v[193:194], v[70:71]
	v_fma_f64 v[193:194], v[128:129], s[22:23], v[182:183]
	v_add_f64 v[74:75], v[92:93], v[74:75]
	v_add_f64 v[12:13], v[14:15], v[12:13]
	;; [unrolled: 1-line block ×7, first 2 shown]
	v_mul_u32_u24_e32 v12, 11, v192
	v_lshlrev_b32_e32 v12, 4, v12
	v_add_f64 v[68:69], v[193:194], v[68:69]
	ds_write_b128 v12, v[8:11]
	ds_write_b128 v12, v[72:75] offset:16
	ds_write_b128 v12, v[80:83] offset:32
	;; [unrolled: 1-line block ×10, first 2 shown]
.LBB0_7:
	s_or_b64 exec, exec, s[40:41]
	s_waitcnt lgkmcnt(0)
	; wave barrier
	s_waitcnt lgkmcnt(0)
	ds_read_b128 v[26:29], v190
	ds_read_b128 v[16:19], v190 offset:880
	ds_read_b128 v[84:87], v190 offset:3696
	ds_read_b128 v[104:107], v190 offset:4576
	ds_read_b128 v[80:83], v190 offset:7392
	ds_read_b128 v[100:103], v190 offset:8272
	ds_read_b128 v[76:79], v190 offset:11088
	ds_read_b128 v[96:99], v190 offset:11968
	ds_read_b128 v[58:61], v190 offset:14784
	ds_read_b128 v[92:95], v190 offset:15664
	ds_read_b128 v[12:15], v190 offset:1760
	ds_read_b128 v[8:11], v190 offset:2640
	ds_read_b128 v[116:119], v190 offset:5456
	ds_read_b128 v[50:53], v190 offset:6336
	ds_read_b128 v[112:115], v190 offset:9152
	ds_read_b128 v[46:49], v190 offset:10032
	ds_read_b128 v[108:111], v190 offset:12848
	ds_read_b128 v[42:45], v190 offset:13728
	ds_read_b128 v[54:57], v190 offset:16544
	ds_read_b128 v[38:41], v190 offset:17424
	v_cmp_gt_u16_e64 s[0:1], 11, v217
                                        ; implicit-def: $vgpr20_vgpr21
                                        ; implicit-def: $vgpr30_vgpr31
                                        ; implicit-def: $vgpr34_vgpr35
	s_and_saveexec_b64 s[4:5], s[0:1]
	s_cbranch_execz .LBB0_9
; %bb.8:
	ds_read_b128 v[0:3], v190 offset:3520
	ds_read_b128 v[4:7], v190 offset:7216
	;; [unrolled: 1-line block ×5, first 2 shown]
.LBB0_9:
	s_or_b64 exec, exec, s[4:5]
	s_movk_i32 s4, 0x6e
	v_add_co_u32_e64 v200, s[4:5], s4, v217
	v_addc_co_u32_e64 v201, s[4:5], 0, 0, s[4:5]
	s_movk_i32 s4, 0xa5
	v_add_co_u32_e64 v62, s[4:5], s4, v217
	v_addc_co_u32_e64 v63, s[4:5], 0, 0, s[4:5]
	s_movk_i32 s4, 0x75
	v_mul_lo_u16_sdwa v24, v217, s4 dst_sel:DWORD dst_unused:UNUSED_PAD src0_sel:BYTE_0 src1_sel:DWORD
	v_sub_u16_sdwa v25, v217, v24 dst_sel:DWORD dst_unused:UNUSED_PAD src0_sel:DWORD src1_sel:BYTE_1
	v_lshrrev_b16_e32 v25, 1, v25
	v_and_b32_e32 v25, 0x7f, v25
	v_add_u16_sdwa v24, v25, v24 dst_sel:DWORD dst_unused:UNUSED_PAD src0_sel:DWORD src1_sel:BYTE_1
	v_lshrrev_b16_e32 v120, 3, v24
	v_mul_lo_u16_e32 v24, 11, v120
	v_sub_u16_e32 v24, v217, v24
	v_and_b32_e32 v121, 0xff, v24
	v_lshlrev_b32_e32 v24, 6, v121
	global_load_dwordx4 v[68:71], v24, s[12:13] offset:48
	global_load_dwordx4 v[72:75], v24, s[12:13] offset:32
	;; [unrolled: 1-line block ×3, first 2 shown]
	global_load_dwordx4 v[64:67], v24, s[12:13]
	s_mov_b32 s18, 0x134454ff
	s_mov_b32 s19, 0x3fee6f0e
	;; [unrolled: 1-line block ×8, first 2 shown]
	s_waitcnt vmcnt(0) lgkmcnt(14)
	v_mul_f64 v[24:25], v[86:87], v[66:67]
	v_fma_f64 v[90:91], v[84:85], v[64:65], -v[24:25]
	v_mul_f64 v[24:25], v[84:85], v[66:67]
	buffer_store_dword v64, off, s[48:51], 0 offset:284 ; 4-byte Folded Spill
	s_nop 0
	buffer_store_dword v65, off, s[48:51], 0 offset:288 ; 4-byte Folded Spill
	buffer_store_dword v66, off, s[48:51], 0 offset:292 ; 4-byte Folded Spill
	;; [unrolled: 1-line block ×3, first 2 shown]
	v_fma_f64 v[64:65], v[86:87], v[64:65], v[24:25]
	v_mul_f64 v[24:25], v[82:83], v[124:125]
	v_fma_f64 v[84:85], v[80:81], v[122:123], -v[24:25]
	v_mul_f64 v[24:25], v[80:81], v[124:125]
	buffer_store_dword v122, off, s[48:51], 0 offset:268 ; 4-byte Folded Spill
	s_nop 0
	buffer_store_dword v123, off, s[48:51], 0 offset:272 ; 4-byte Folded Spill
	buffer_store_dword v124, off, s[48:51], 0 offset:276 ; 4-byte Folded Spill
	;; [unrolled: 1-line block ×3, first 2 shown]
	v_fma_f64 v[66:67], v[82:83], v[122:123], v[24:25]
	s_waitcnt lgkmcnt(13)
	v_mul_f64 v[24:25], v[78:79], v[74:75]
	v_fma_f64 v[80:81], v[76:77], v[72:73], -v[24:25]
	v_mul_f64 v[24:25], v[76:77], v[74:75]
	buffer_store_dword v72, off, s[48:51], 0 offset:252 ; 4-byte Folded Spill
	s_nop 0
	buffer_store_dword v73, off, s[48:51], 0 offset:256 ; 4-byte Folded Spill
	buffer_store_dword v74, off, s[48:51], 0 offset:260 ; 4-byte Folded Spill
	;; [unrolled: 1-line block ×3, first 2 shown]
	v_fma_f64 v[76:77], v[78:79], v[72:73], v[24:25]
	s_waitcnt lgkmcnt(11)
	v_mul_f64 v[24:25], v[60:61], v[70:71]
	v_fma_f64 v[82:83], v[58:59], v[68:69], -v[24:25]
	v_mul_f64 v[24:25], v[58:59], v[70:71]
	buffer_store_dword v68, off, s[48:51], 0 offset:236 ; 4-byte Folded Spill
	s_nop 0
	buffer_store_dword v69, off, s[48:51], 0 offset:240 ; 4-byte Folded Spill
	buffer_store_dword v70, off, s[48:51], 0 offset:244 ; 4-byte Folded Spill
	;; [unrolled: 1-line block ×3, first 2 shown]
	v_fma_f64 v[78:79], v[60:61], v[68:69], v[24:25]
	v_mul_lo_u16_sdwa v24, v192, s4 dst_sel:DWORD dst_unused:UNUSED_PAD src0_sel:BYTE_0 src1_sel:DWORD
	v_sub_u16_sdwa v25, v192, v24 dst_sel:DWORD dst_unused:UNUSED_PAD src0_sel:DWORD src1_sel:BYTE_1
	v_lshrrev_b16_e32 v25, 1, v25
	v_and_b32_e32 v25, 0x7f, v25
	v_add_u16_sdwa v24, v25, v24 dst_sel:DWORD dst_unused:UNUSED_PAD src0_sel:DWORD src1_sel:BYTE_1
	v_lshrrev_b16_e32 v86, 3, v24
	v_mul_lo_u16_e32 v24, 11, v86
	v_sub_u16_e32 v24, v192, v24
	v_and_b32_e32 v87, 0xff, v24
	v_lshlrev_b32_e32 v24, 6, v87
	global_load_dwordx4 v[58:61], v24, s[12:13] offset:48
	global_load_dwordx4 v[122:125], v24, s[12:13] offset:32
	;; [unrolled: 1-line block ×3, first 2 shown]
	global_load_dwordx4 v[126:129], v24, s[12:13]
	s_waitcnt vmcnt(0)
	v_mul_f64 v[24:25], v[106:107], v[128:129]
	v_fma_f64 v[68:69], v[104:105], v[126:127], -v[24:25]
	v_mul_f64 v[24:25], v[104:105], v[128:129]
	buffer_store_dword v126, off, s[48:51], 0 offset:348 ; 4-byte Folded Spill
	s_nop 0
	buffer_store_dword v127, off, s[48:51], 0 offset:352 ; 4-byte Folded Spill
	buffer_store_dword v128, off, s[48:51], 0 offset:356 ; 4-byte Folded Spill
	buffer_store_dword v129, off, s[48:51], 0 offset:360 ; 4-byte Folded Spill
	v_fma_f64 v[128:129], v[106:107], v[126:127], v[24:25]
	v_mul_f64 v[24:25], v[102:103], v[74:75]
	v_fma_f64 v[70:71], v[100:101], v[72:73], -v[24:25]
	v_mul_f64 v[24:25], v[100:101], v[74:75]
	buffer_store_dword v72, off, s[48:51], 0 offset:332 ; 4-byte Folded Spill
	s_nop 0
	buffer_store_dword v73, off, s[48:51], 0 offset:336 ; 4-byte Folded Spill
	buffer_store_dword v74, off, s[48:51], 0 offset:340 ; 4-byte Folded Spill
	buffer_store_dword v75, off, s[48:51], 0 offset:344 ; 4-byte Folded Spill
	v_fma_f64 v[130:131], v[102:103], v[72:73], v[24:25]
	;; [unrolled: 9-line block ×3, first 2 shown]
	s_waitcnt lgkmcnt(10)
	v_mul_f64 v[24:25], v[94:95], v[60:61]
	v_fma_f64 v[74:75], v[92:93], v[58:59], -v[24:25]
	v_mul_f64 v[24:25], v[92:93], v[60:61]
	buffer_store_dword v58, off, s[48:51], 0 offset:300 ; 4-byte Folded Spill
	s_nop 0
	buffer_store_dword v59, off, s[48:51], 0 offset:304 ; 4-byte Folded Spill
	buffer_store_dword v60, off, s[48:51], 0 offset:308 ; 4-byte Folded Spill
	;; [unrolled: 1-line block ×3, first 2 shown]
	v_fma_f64 v[142:143], v[94:95], v[58:59], v[24:25]
	v_mul_lo_u16_sdwa v24, v200, s4 dst_sel:DWORD dst_unused:UNUSED_PAD src0_sel:BYTE_0 src1_sel:DWORD
	v_sub_u16_sdwa v25, v200, v24 dst_sel:DWORD dst_unused:UNUSED_PAD src0_sel:DWORD src1_sel:BYTE_1
	v_lshrrev_b16_e32 v25, 1, v25
	v_and_b32_e32 v25, 0x7f, v25
	v_add_u16_sdwa v24, v25, v24 dst_sel:DWORD dst_unused:UNUSED_PAD src0_sel:DWORD src1_sel:BYTE_1
	v_lshrrev_b16_e32 v92, 3, v24
	v_mul_lo_u16_e32 v24, 11, v92
	v_sub_u16_e32 v24, v200, v24
	v_and_b32_e32 v93, 0xff, v24
	v_lshlrev_b32_e32 v24, 6, v93
	global_load_dwordx4 v[58:61], v24, s[12:13] offset:48
	global_load_dwordx4 v[94:97], v24, s[12:13] offset:32
	global_load_dwordx4 v[98:101], v24, s[12:13] offset:16
	global_load_dwordx4 v[102:105], v24, s[12:13]
	s_waitcnt vmcnt(0) lgkmcnt(7)
	v_mul_f64 v[24:25], v[118:119], v[104:105]
	v_fma_f64 v[134:135], v[116:117], v[102:103], -v[24:25]
	v_mul_f64 v[24:25], v[116:117], v[104:105]
	buffer_store_dword v102, off, s[48:51], 0 offset:412 ; 4-byte Folded Spill
	s_nop 0
	buffer_store_dword v103, off, s[48:51], 0 offset:416 ; 4-byte Folded Spill
	buffer_store_dword v104, off, s[48:51], 0 offset:420 ; 4-byte Folded Spill
	buffer_store_dword v105, off, s[48:51], 0 offset:424 ; 4-byte Folded Spill
	v_fma_f64 v[150:151], v[118:119], v[102:103], v[24:25]
	s_waitcnt lgkmcnt(5)
	v_mul_f64 v[24:25], v[114:115], v[100:101]
	v_fma_f64 v[146:147], v[112:113], v[98:99], -v[24:25]
	v_mul_f64 v[24:25], v[112:113], v[100:101]
	buffer_store_dword v98, off, s[48:51], 0 offset:396 ; 4-byte Folded Spill
	s_nop 0
	buffer_store_dword v99, off, s[48:51], 0 offset:400 ; 4-byte Folded Spill
	buffer_store_dword v100, off, s[48:51], 0 offset:404 ; 4-byte Folded Spill
	buffer_store_dword v101, off, s[48:51], 0 offset:408 ; 4-byte Folded Spill
	v_fma_f64 v[174:175], v[114:115], v[98:99], v[24:25]
	s_waitcnt lgkmcnt(3)
	;; [unrolled: 10-line block ×3, first 2 shown]
	v_mul_f64 v[24:25], v[56:57], v[60:61]
	v_fma_f64 v[182:183], v[54:55], v[58:59], -v[24:25]
	v_mul_f64 v[24:25], v[54:55], v[60:61]
	buffer_store_dword v58, off, s[48:51], 0 offset:364 ; 4-byte Folded Spill
	s_nop 0
	buffer_store_dword v59, off, s[48:51], 0 offset:368 ; 4-byte Folded Spill
	buffer_store_dword v60, off, s[48:51], 0 offset:372 ; 4-byte Folded Spill
	;; [unrolled: 1-line block ×3, first 2 shown]
	v_fma_f64 v[178:179], v[56:57], v[58:59], v[24:25]
	v_mul_lo_u16_sdwa v24, v62, s4 dst_sel:DWORD dst_unused:UNUSED_PAD src0_sel:BYTE_0 src1_sel:DWORD
	v_sub_u16_sdwa v25, v62, v24 dst_sel:DWORD dst_unused:UNUSED_PAD src0_sel:DWORD src1_sel:BYTE_1
	v_lshrrev_b16_e32 v25, 1, v25
	v_and_b32_e32 v25, 0x7f, v25
	v_add_u16_sdwa v24, v25, v24 dst_sel:DWORD dst_unused:UNUSED_PAD src0_sel:DWORD src1_sel:BYTE_1
	v_lshrrev_b16_e32 v94, 3, v24
	v_mul_lo_u16_e32 v24, 11, v94
	v_sub_u16_e32 v24, v62, v24
	v_and_b32_e32 v95, 0xff, v24
	v_lshlrev_b32_e32 v24, 6, v95
	global_load_dwordx4 v[54:57], v24, s[12:13] offset:48
	global_load_dwordx4 v[58:61], v24, s[12:13] offset:32
	;; [unrolled: 1-line block ×3, first 2 shown]
	global_load_dwordx4 v[100:103], v24, s[12:13]
	s_movk_i32 s4, 0xdc
	s_waitcnt vmcnt(0)
	v_mul_f64 v[24:25], v[52:53], v[102:103]
	v_fma_f64 v[170:171], v[50:51], v[100:101], -v[24:25]
	v_mul_f64 v[24:25], v[50:51], v[102:103]
	buffer_store_dword v100, off, s[48:51], 0 offset:476 ; 4-byte Folded Spill
	s_nop 0
	buffer_store_dword v101, off, s[48:51], 0 offset:480 ; 4-byte Folded Spill
	buffer_store_dword v102, off, s[48:51], 0 offset:484 ; 4-byte Folded Spill
	;; [unrolled: 1-line block ×3, first 2 shown]
	v_add_f64 v[50:51], v[74:75], -v[72:73]
	v_fma_f64 v[162:163], v[52:53], v[100:101], v[24:25]
	v_mul_f64 v[24:25], v[48:49], v[98:99]
	v_fma_f64 v[52:53], v[46:47], v[96:97], -v[24:25]
	v_mul_f64 v[24:25], v[46:47], v[98:99]
	buffer_store_dword v96, off, s[48:51], 0 offset:460 ; 4-byte Folded Spill
	s_nop 0
	buffer_store_dword v97, off, s[48:51], 0 offset:464 ; 4-byte Folded Spill
	buffer_store_dword v98, off, s[48:51], 0 offset:468 ; 4-byte Folded Spill
	;; [unrolled: 1-line block ×3, first 2 shown]
	v_add_f64 v[46:47], v[68:69], -v[70:71]
	v_add_f64 v[46:47], v[46:47], v[50:51]
	v_add_f64 v[50:51], v[128:129], -v[130:131]
	v_fma_f64 v[164:165], v[48:49], v[96:97], v[24:25]
	v_mul_f64 v[24:25], v[44:45], v[60:61]
	v_fma_f64 v[48:49], v[42:43], v[58:59], -v[24:25]
	v_mul_f64 v[24:25], v[42:43], v[60:61]
	buffer_store_dword v58, off, s[48:51], 0 offset:444 ; 4-byte Folded Spill
	s_nop 0
	buffer_store_dword v59, off, s[48:51], 0 offset:448 ; 4-byte Folded Spill
	buffer_store_dword v60, off, s[48:51], 0 offset:452 ; 4-byte Folded Spill
	;; [unrolled: 1-line block ×3, first 2 shown]
	v_fma_f64 v[166:167], v[44:45], v[58:59], v[24:25]
	s_waitcnt lgkmcnt(0)
	v_mul_f64 v[24:25], v[40:41], v[56:57]
	v_fma_f64 v[172:173], v[38:39], v[54:55], -v[24:25]
	v_mul_f64 v[24:25], v[38:39], v[56:57]
	buffer_store_dword v54, off, s[48:51], 0 offset:428 ; 4-byte Folded Spill
	s_nop 0
	buffer_store_dword v55, off, s[48:51], 0 offset:432 ; 4-byte Folded Spill
	buffer_store_dword v56, off, s[48:51], 0 offset:436 ; 4-byte Folded Spill
	;; [unrolled: 1-line block ×3, first 2 shown]
	v_fma_f64 v[168:169], v[40:41], v[54:55], v[24:25]
	v_add_co_u32_e64 v54, s[4:5], s4, v217
	v_addc_co_u32_e64 v55, s[4:5], 0, 0, s[4:5]
	s_mov_b32 s4, 0xba2f
	v_mul_u32_u24_sdwa v24, v54, s4 dst_sel:DWORD dst_unused:UNUSED_PAD src0_sel:WORD_0 src1_sel:DWORD
	v_lshrrev_b32_e32 v24, 19, v24
	v_mul_lo_u16_e32 v24, 11, v24
	v_sub_u16_e32 v96, v54, v24
	v_lshlrev_b16_e32 v24, 2, v96
	v_lshlrev_b32_e32 v24, 4, v24
	global_load_dwordx4 v[38:41], v24, s[12:13] offset:48
	global_load_dwordx4 v[42:45], v24, s[12:13] offset:32
	;; [unrolled: 1-line block ×3, first 2 shown]
	global_load_dwordx4 v[58:61], v24, s[12:13]
	s_mov_b32 s4, 0x372fe950
	s_mov_b32 s5, 0x3fd3c6ef
	s_waitcnt vmcnt(0)
	v_mul_f64 v[24:25], v[6:7], v[60:61]
	v_fma_f64 v[56:57], v[4:5], v[58:59], -v[24:25]
	v_mul_f64 v[4:5], v[4:5], v[60:61]
	buffer_store_dword v58, off, s[48:51], 0 offset:696 ; 4-byte Folded Spill
	s_nop 0
	buffer_store_dword v59, off, s[48:51], 0 offset:700 ; 4-byte Folded Spill
	buffer_store_dword v60, off, s[48:51], 0 offset:704 ; 4-byte Folded Spill
	buffer_store_dword v61, off, s[48:51], 0 offset:708 ; 4-byte Folded Spill
	v_add_f64 v[24:25], v[90:91], -v[84:85]
	v_fma_f64 v[154:155], v[6:7], v[58:59], v[4:5]
	v_mul_f64 v[4:5], v[22:23], v[99:100]
	v_add_f64 v[6:7], v[84:85], v[80:81]
	v_fma_f64 v[58:59], v[20:21], v[97:98], -v[4:5]
	v_mul_f64 v[4:5], v[20:21], v[99:100]
	buffer_store_dword v97, off, s[48:51], 0 offset:680 ; 4-byte Folded Spill
	s_nop 0
	buffer_store_dword v98, off, s[48:51], 0 offset:684 ; 4-byte Folded Spill
	buffer_store_dword v99, off, s[48:51], 0 offset:688 ; 4-byte Folded Spill
	;; [unrolled: 1-line block ×3, first 2 shown]
	v_fma_f64 v[6:7], v[6:7], -0.5, v[26:27]
	v_fma_f64 v[152:153], v[22:23], v[97:98], v[4:5]
	v_mul_f64 v[4:5], v[32:33], v[44:45]
	v_add_f64 v[22:23], v[64:65], -v[78:79]
	v_fma_f64 v[60:61], v[30:31], v[42:43], -v[4:5]
	v_mul_f64 v[4:5], v[30:31], v[44:45]
	buffer_store_dword v42, off, s[48:51], 0 offset:664 ; 4-byte Folded Spill
	s_nop 0
	buffer_store_dword v43, off, s[48:51], 0 offset:668 ; 4-byte Folded Spill
	buffer_store_dword v44, off, s[48:51], 0 offset:672 ; 4-byte Folded Spill
	;; [unrolled: 1-line block ×3, first 2 shown]
	v_fma_f64 v[20:21], v[22:23], s[18:19], v[6:7]
	v_add_f64 v[30:31], v[66:67], -v[76:77]
	v_fma_f64 v[6:7], v[22:23], s[20:21], v[6:7]
	v_add_f64 v[44:45], v[130:131], -v[132:133]
	v_fma_f64 v[20:21], v[30:31], s[14:15], v[20:21]
	v_fma_f64 v[6:7], v[30:31], s[22:23], v[6:7]
	;; [unrolled: 1-line block ×3, first 2 shown]
	v_mul_f64 v[4:5], v[36:37], v[40:41]
	v_add_f64 v[32:33], v[82:83], -v[80:81]
	v_add_f64 v[42:43], v[76:77], -v[78:79]
	v_fma_f64 v[156:157], v[34:35], v[38:39], -v[4:5]
	v_mul_f64 v[4:5], v[34:35], v[40:41]
	buffer_store_dword v38, off, s[48:51], 0 offset:648 ; 4-byte Folded Spill
	s_nop 0
	buffer_store_dword v39, off, s[48:51], 0 offset:652 ; 4-byte Folded Spill
	buffer_store_dword v40, off, s[48:51], 0 offset:656 ; 4-byte Folded Spill
	;; [unrolled: 1-line block ×3, first 2 shown]
	v_add_f64 v[32:33], v[24:25], v[32:33]
	v_add_f64 v[34:35], v[80:81], -v[82:83]
	v_add_f64 v[40:41], v[78:79], -v[76:77]
	v_fma_f64 v[24:25], v[32:33], s[4:5], v[20:21]
	v_fma_f64 v[20:21], v[32:33], s[4:5], v[6:7]
	v_add_f64 v[6:7], v[90:91], v[82:83]
	v_add_f64 v[32:33], v[84:85], -v[90:91]
	v_fma_f64 v[6:7], v[6:7], -0.5, v[26:27]
	v_add_f64 v[32:33], v[32:33], v[34:35]
	v_fma_f64 v[160:161], v[36:37], v[38:39], v[4:5]
	v_add_f64 v[4:5], v[26:27], v[90:91]
	v_fma_f64 v[26:27], v[30:31], s[20:21], v[6:7]
	v_fma_f64 v[6:7], v[30:31], s[18:19], v[6:7]
	v_add_f64 v[38:39], v[84:85], -v[80:81]
	v_add_f64 v[36:37], v[64:65], -v[66:67]
	v_add_f64 v[4:5], v[4:5], v[84:85]
	v_fma_f64 v[26:27], v[22:23], s[14:15], v[26:27]
	v_fma_f64 v[6:7], v[22:23], s[22:23], v[6:7]
	v_add_f64 v[22:23], v[66:67], v[76:77]
	v_add_f64 v[36:37], v[36:37], v[40:41]
	v_add_f64 v[40:41], v[66:67], -v[64:65]
	v_add_f64 v[4:5], v[4:5], v[80:81]
	v_fma_f64 v[34:35], v[32:33], s[4:5], v[26:27]
	v_fma_f64 v[30:31], v[32:33], s[4:5], v[6:7]
	v_fma_f64 v[22:23], v[22:23], -0.5, v[28:29]
	v_add_f64 v[32:33], v[90:91], -v[82:83]
	v_add_f64 v[6:7], v[28:29], v[64:65]
	v_add_f64 v[40:41], v[40:41], v[42:43]
	;; [unrolled: 1-line block ×3, first 2 shown]
	v_fma_f64 v[26:27], v[32:33], s[20:21], v[22:23]
	v_fma_f64 v[22:23], v[32:33], s[18:19], v[22:23]
	v_add_f64 v[6:7], v[6:7], v[66:67]
	v_add_f64 v[66:67], v[172:173], -v[48:49]
	v_fma_f64 v[26:27], v[38:39], s[22:23], v[26:27]
	v_fma_f64 v[22:23], v[38:39], s[14:15], v[22:23]
	v_add_f64 v[6:7], v[6:7], v[76:77]
	v_add_f64 v[76:77], v[156:157], -v[60:61]
	;; [unrolled: 4-line block ×3, first 2 shown]
	v_add_f64 v[6:7], v[6:7], v[78:79]
	v_fma_f64 v[28:29], v[36:37], -0.5, v[28:29]
	v_add_f64 v[50:51], v[50:51], v[64:65]
	v_add_f64 v[64:65], v[182:183], -v[180:181]
	v_fma_f64 v[36:37], v[38:39], s[18:19], v[28:29]
	v_fma_f64 v[28:29], v[38:39], s[20:21], v[28:29]
	;; [unrolled: 1-line block ×6, first 2 shown]
	v_add_f64 v[28:29], v[16:17], v[68:69]
	v_add_f64 v[40:41], v[128:129], -v[142:143]
	v_add_f64 v[28:29], v[28:29], v[70:71]
	v_add_f64 v[28:29], v[28:29], v[72:73]
	;; [unrolled: 1-line block ×4, first 2 shown]
	v_fma_f64 v[28:29], v[28:29], -0.5, v[16:17]
	v_fma_f64 v[42:43], v[40:41], s[18:19], v[28:29]
	v_fma_f64 v[28:29], v[40:41], s[20:21], v[28:29]
	;; [unrolled: 1-line block ×6, first 2 shown]
	v_add_f64 v[28:29], v[68:69], v[74:75]
	v_add_f64 v[42:43], v[70:71], -v[68:69]
	v_add_f64 v[46:47], v[72:73], -v[74:75]
	v_fma_f64 v[16:17], v[28:29], -0.5, v[16:17]
	v_add_f64 v[42:43], v[42:43], v[46:47]
	v_add_f64 v[46:47], v[70:71], -v[72:73]
	v_add_f64 v[70:71], v[52:53], -v[48:49]
	;; [unrolled: 1-line block ×3, first 2 shown]
	v_fma_f64 v[28:29], v[44:45], s[20:21], v[16:17]
	v_fma_f64 v[16:17], v[44:45], s[18:19], v[16:17]
	;; [unrolled: 1-line block ×5, first 2 shown]
	v_add_f64 v[28:29], v[18:19], v[128:129]
	v_fma_f64 v[16:17], v[42:43], s[4:5], v[16:17]
	v_add_f64 v[42:43], v[68:69], -v[74:75]
	v_add_f64 v[68:69], v[48:49], -v[172:173]
	;; [unrolled: 1-line block ×3, first 2 shown]
	v_add_f64 v[28:29], v[28:29], v[130:131]
	v_add_f64 v[74:75], v[74:75], v[76:77]
	v_add_f64 v[76:77], v[60:61], -v[156:157]
	v_add_f64 v[28:29], v[28:29], v[132:133]
	v_add_f64 v[40:41], v[28:29], v[142:143]
	;; [unrolled: 1-line block ×3, first 2 shown]
	v_fma_f64 v[28:29], v[28:29], -0.5, v[18:19]
	v_fma_f64 v[44:45], v[42:43], s[20:21], v[28:29]
	v_fma_f64 v[28:29], v[42:43], s[18:19], v[28:29]
	;; [unrolled: 1-line block ×6, first 2 shown]
	v_add_f64 v[28:29], v[128:129], v[142:143]
	v_add_f64 v[44:45], v[130:131], -v[128:129]
	v_add_f64 v[50:51], v[132:133], -v[142:143]
	v_fma_f64 v[18:19], v[28:29], -0.5, v[18:19]
	v_add_f64 v[44:45], v[44:45], v[50:51]
	v_add_f64 v[50:51], v[134:135], -v[146:147]
	v_fma_f64 v[28:29], v[46:47], s[18:19], v[18:19]
	v_fma_f64 v[18:19], v[46:47], s[20:21], v[18:19]
	v_add_f64 v[46:47], v[174:175], -v[176:177]
	v_add_f64 v[50:51], v[50:51], v[64:65]
	v_add_f64 v[64:65], v[178:179], -v[176:177]
	v_fma_f64 v[28:29], v[42:43], s[22:23], v[28:29]
	v_fma_f64 v[18:19], v[42:43], s[14:15], v[18:19]
	v_add_f64 v[42:43], v[150:151], -v[178:179]
	v_fma_f64 v[142:143], v[44:45], s[4:5], v[28:29]
	v_add_f64 v[28:29], v[12:13], v[134:135]
	v_fma_f64 v[18:19], v[44:45], s[4:5], v[18:19]
	v_add_f64 v[28:29], v[28:29], v[146:147]
	v_add_f64 v[28:29], v[28:29], v[180:181]
	;; [unrolled: 1-line block ×4, first 2 shown]
	v_fma_f64 v[28:29], v[28:29], -0.5, v[12:13]
	v_fma_f64 v[44:45], v[42:43], s[18:19], v[28:29]
	v_fma_f64 v[28:29], v[42:43], s[20:21], v[28:29]
	;; [unrolled: 1-line block ×6, first 2 shown]
	v_add_f64 v[28:29], v[134:135], v[182:183]
	v_add_f64 v[44:45], v[146:147], -v[134:135]
	v_add_f64 v[50:51], v[180:181], -v[182:183]
	v_fma_f64 v[12:13], v[28:29], -0.5, v[12:13]
	v_add_f64 v[44:45], v[44:45], v[50:51]
	v_add_f64 v[50:51], v[150:151], -v[174:175]
	v_fma_f64 v[28:29], v[46:47], s[20:21], v[12:13]
	v_fma_f64 v[12:13], v[46:47], s[18:19], v[12:13]
	v_add_f64 v[46:47], v[146:147], -v[180:181]
	v_add_f64 v[50:51], v[50:51], v[64:65]
	v_add_f64 v[64:65], v[164:165], -v[166:167]
	v_fma_f64 v[28:29], v[42:43], s[14:15], v[28:29]
	v_fma_f64 v[12:13], v[42:43], s[22:23], v[12:13]
	v_add_f64 v[42:43], v[134:135], -v[182:183]
	v_fma_f64 v[148:149], v[44:45], s[4:5], v[28:29]
	v_add_f64 v[28:29], v[14:15], v[150:151]
	v_fma_f64 v[12:13], v[44:45], s[4:5], v[12:13]
	v_add_f64 v[28:29], v[28:29], v[174:175]
	v_add_f64 v[28:29], v[28:29], v[176:177]
	;; [unrolled: 1-line block ×4, first 2 shown]
	v_fma_f64 v[28:29], v[28:29], -0.5, v[14:15]
	v_fma_f64 v[44:45], v[42:43], s[20:21], v[28:29]
	v_fma_f64 v[28:29], v[42:43], s[18:19], v[28:29]
	v_fma_f64 v[44:45], v[46:47], s[22:23], v[44:45]
	v_fma_f64 v[28:29], v[46:47], s[14:15], v[28:29]
	v_fma_f64 v[146:147], v[50:51], s[4:5], v[44:45]
	v_fma_f64 v[134:135], v[50:51], s[4:5], v[28:29]
	v_add_f64 v[28:29], v[150:151], v[178:179]
	v_add_f64 v[44:45], v[174:175], -v[150:151]
	v_add_f64 v[50:51], v[176:177], -v[178:179]
	v_fma_f64 v[14:15], v[28:29], -0.5, v[14:15]
	v_add_f64 v[44:45], v[44:45], v[50:51]
	v_add_f64 v[50:51], v[170:171], -v[52:53]
	v_fma_f64 v[28:29], v[46:47], s[18:19], v[14:15]
	v_fma_f64 v[14:15], v[46:47], s[20:21], v[14:15]
	v_add_f64 v[66:67], v[50:51], v[66:67]
	v_fma_f64 v[28:29], v[42:43], s[22:23], v[28:29]
	v_fma_f64 v[14:15], v[42:43], s[14:15], v[14:15]
	;; [unrolled: 1-line block ×3, first 2 shown]
	v_add_f64 v[28:29], v[8:9], v[170:171]
	v_fma_f64 v[14:15], v[44:45], s[4:5], v[14:15]
	v_add_f64 v[44:45], v[162:163], -v[168:169]
	v_add_f64 v[28:29], v[28:29], v[52:53]
	v_add_f64 v[28:29], v[28:29], v[48:49]
	;; [unrolled: 1-line block ×4, first 2 shown]
	v_fma_f64 v[28:29], v[28:29], -0.5, v[8:9]
	v_fma_f64 v[46:47], v[44:45], s[18:19], v[28:29]
	v_fma_f64 v[28:29], v[44:45], s[20:21], v[28:29]
	;; [unrolled: 1-line block ×6, first 2 shown]
	v_add_f64 v[28:29], v[170:171], v[172:173]
	v_add_f64 v[66:67], v[52:53], -v[170:171]
	v_add_f64 v[52:53], v[162:163], -v[164:165]
	v_fma_f64 v[28:29], v[28:29], -0.5, v[8:9]
	v_add_f64 v[66:67], v[66:67], v[68:69]
	v_fma_f64 v[8:9], v[64:65], s[20:21], v[28:29]
	v_fma_f64 v[28:29], v[64:65], s[18:19], v[28:29]
	;; [unrolled: 1-line block ×6, first 2 shown]
	v_add_f64 v[28:29], v[10:11], v[162:163]
	v_add_f64 v[66:67], v[170:171], -v[172:173]
	v_add_f64 v[28:29], v[28:29], v[164:165]
	v_add_f64 v[28:29], v[28:29], v[166:167]
	;; [unrolled: 1-line block ×4, first 2 shown]
	v_fma_f64 v[28:29], v[28:29], -0.5, v[10:11]
	v_fma_f64 v[68:69], v[66:67], s[20:21], v[28:29]
	v_fma_f64 v[28:29], v[66:67], s[18:19], v[28:29]
	;; [unrolled: 1-line block ×3, first 2 shown]
	v_add_f64 v[68:69], v[168:169], -v[166:167]
	v_fma_f64 v[28:29], v[70:71], s[14:15], v[28:29]
	v_add_f64 v[68:69], v[52:53], v[68:69]
	v_fma_f64 v[52:53], v[68:69], s[4:5], v[48:49]
	v_fma_f64 v[48:49], v[68:69], s[4:5], v[28:29]
	v_add_f64 v[28:29], v[162:163], v[168:169]
	v_add_f64 v[68:69], v[164:165], -v[162:163]
	v_fma_f64 v[28:29], v[28:29], -0.5, v[10:11]
	v_add_f64 v[68:69], v[68:69], v[72:73]
	v_add_f64 v[72:73], v[152:153], -v[158:159]
	v_fma_f64 v[10:11], v[70:71], s[18:19], v[28:29]
	v_fma_f64 v[28:29], v[70:71], s[20:21], v[28:29]
	;; [unrolled: 1-line block ×6, first 2 shown]
	v_add_f64 v[28:29], v[58:59], v[60:61]
	v_add_f64 v[68:69], v[154:155], -v[160:161]
	v_fma_f64 v[28:29], v[28:29], -0.5, v[0:1]
	v_fma_f64 v[70:71], v[68:69], s[18:19], v[28:29]
	v_fma_f64 v[28:29], v[68:69], s[20:21], v[28:29]
	;; [unrolled: 1-line block ×6, first 2 shown]
	v_add_f64 v[28:29], v[56:57], v[156:157]
	v_add_f64 v[74:75], v[58:59], -v[56:57]
	v_fma_f64 v[28:29], v[28:29], -0.5, v[0:1]
	v_add_f64 v[74:75], v[74:75], v[76:77]
	v_add_f64 v[76:77], v[160:161], -v[158:159]
	v_fma_f64 v[70:71], v[72:73], s[20:21], v[28:29]
	v_fma_f64 v[28:29], v[72:73], s[18:19], v[28:29]
	v_add_f64 v[72:73], v[58:59], -v[60:61]
	v_fma_f64 v[70:71], v[68:69], s[14:15], v[70:71]
	v_fma_f64 v[28:29], v[68:69], s[22:23], v[28:29]
	;; [unrolled: 3-line block ×3, first 2 shown]
	v_add_f64 v[28:29], v[152:153], v[158:159]
	v_add_f64 v[74:75], v[154:155], -v[152:153]
	v_fma_f64 v[28:29], v[28:29], -0.5, v[2:3]
	v_add_f64 v[74:75], v[74:75], v[76:77]
	v_add_f64 v[76:77], v[158:159], -v[160:161]
	v_fma_f64 v[70:71], v[68:69], s[20:21], v[28:29]
	v_fma_f64 v[28:29], v[68:69], s[18:19], v[28:29]
	;; [unrolled: 1-line block ×6, first 2 shown]
	v_add_f64 v[28:29], v[154:155], v[160:161]
	v_add_f64 v[74:75], v[152:153], -v[154:155]
	buffer_store_dword v78, off, s[48:51], 0 ; 4-byte Folded Spill
	s_nop 0
	buffer_store_dword v79, off, s[48:51], 0 offset:4 ; 4-byte Folded Spill
	buffer_store_dword v80, off, s[48:51], 0 offset:8 ; 4-byte Folded Spill
	;; [unrolled: 1-line block ×3, first 2 shown]
	v_fma_f64 v[28:29], v[28:29], -0.5, v[2:3]
	v_add_f64 v[74:75], v[74:75], v[76:77]
	v_fma_f64 v[70:71], v[72:73], s[18:19], v[28:29]
	v_fma_f64 v[28:29], v[72:73], s[20:21], v[28:29]
	v_fma_f64 v[70:71], v[68:69], s[22:23], v[70:71]
	v_fma_f64 v[28:29], v[68:69], s[14:15], v[28:29]
	v_fma_f64 v[84:85], v[74:75], s[4:5], v[70:71]
	v_fma_f64 v[99:100], v[74:75], s[4:5], v[28:29]
	v_mul_u32_u24_e32 v28, 55, v120
	v_add_lshl_u32 v28, v28, v121, 4
	buffer_store_dword v82, off, s[48:51], 0 offset:16 ; 4-byte Folded Spill
	s_nop 0
	buffer_store_dword v83, off, s[48:51], 0 offset:20 ; 4-byte Folded Spill
	buffer_store_dword v84, off, s[48:51], 0 offset:24 ; 4-byte Folded Spill
	;; [unrolled: 1-line block ×4, first 2 shown]
	s_nop 0
	buffer_store_dword v98, off, s[48:51], 0 offset:36 ; 4-byte Folded Spill
	buffer_store_dword v99, off, s[48:51], 0 offset:40 ; 4-byte Folded Spill
	;; [unrolled: 1-line block ×3, first 2 shown]
	s_waitcnt lgkmcnt(0)
	; wave barrier
	ds_write_b128 v28, v[4:7]
	ds_write_b128 v28, v[24:27] offset:176
	ds_write_b128 v28, v[34:37] offset:352
	;; [unrolled: 1-line block ×3, first 2 shown]
	v_mul_u32_u24_e32 v4, 55, v86
	v_add_lshl_u32 v4, v4, v87, 4
	buffer_store_dword v28, off, s[48:51], 0 offset:512 ; 4-byte Folded Spill
	ds_write_b128 v28, v[20:23] offset:704
	ds_write_b128 v4, v[38:41]
	ds_write_b128 v4, v[136:139] offset:176
	ds_write_b128 v4, v[140:143] offset:352
	;; [unrolled: 1-line block ×3, first 2 shown]
	buffer_store_dword v4, off, s[48:51], 0 offset:516 ; 4-byte Folded Spill
	ds_write_b128 v4, v[124:127] offset:704
	v_mul_u32_u24_e32 v4, 55, v92
	v_add_lshl_u32 v4, v4, v93, 4
	ds_write_b128 v4, v[128:131]
	ds_write_b128 v4, v[144:147] offset:176
	ds_write_b128 v4, v[148:151] offset:352
	;; [unrolled: 1-line block ×3, first 2 shown]
	buffer_store_dword v4, off, s[48:51], 0 offset:520 ; 4-byte Folded Spill
	ds_write_b128 v4, v[132:135] offset:704
	v_mul_u32_u24_e32 v4, 55, v94
	v_add_lshl_u32 v4, v4, v95, 4
	ds_write_b128 v4, v[42:45]
	ds_write_b128 v4, v[50:53] offset:176
	ds_write_b128 v4, v[8:11] offset:352
	;; [unrolled: 1-line block ×3, first 2 shown]
	buffer_store_dword v4, off, s[48:51], 0 offset:524 ; 4-byte Folded Spill
	ds_write_b128 v4, v[46:49] offset:704
	v_lshlrev_b32_e32 v4, 4, v96
	buffer_store_dword v4, off, s[48:51], 0 offset:492 ; 4-byte Folded Spill
	s_and_saveexec_b64 s[4:5], s[0:1]
	s_cbranch_execz .LBB0_11
; %bb.10:
	buffer_load_dword v8, off, s[48:51], 0 offset:492 ; 4-byte Folded Reload
	v_add_f64 v[2:3], v[2:3], v[154:155]
	v_add_f64 v[0:1], v[0:1], v[56:57]
	;; [unrolled: 1-line block ×8, first 2 shown]
	s_waitcnt vmcnt(0)
	ds_write_b128 v8, v[240:243] offset:17776
	buffer_load_dword v4, off, s[48:51], 0 offset:16 ; 4-byte Folded Reload
	buffer_load_dword v5, off, s[48:51], 0 offset:20 ; 4-byte Folded Reload
	;; [unrolled: 1-line block ×4, first 2 shown]
	s_waitcnt vmcnt(0)
	ds_write_b128 v8, v[4:7] offset:17952
	buffer_load_dword v4, off, s[48:51], 0 offset:32 ; 4-byte Folded Reload
	buffer_load_dword v5, off, s[48:51], 0 offset:36 ; 4-byte Folded Reload
	;; [unrolled: 1-line block ×4, first 2 shown]
	s_waitcnt vmcnt(0)
	ds_write_b128 v8, v[4:7] offset:18128
	ds_write_b128 v8, v[0:3] offset:17600
	buffer_load_dword v0, off, s[48:51], 0  ; 4-byte Folded Reload
	buffer_load_dword v1, off, s[48:51], 0 offset:4 ; 4-byte Folded Reload
	buffer_load_dword v2, off, s[48:51], 0 offset:8 ; 4-byte Folded Reload
	;; [unrolled: 1-line block ×3, first 2 shown]
	s_waitcnt vmcnt(0)
	ds_write_b128 v8, v[0:3] offset:18304
.LBB0_11:
	s_or_b64 exec, exec, s[4:5]
	v_mov_b32_e32 v0, s17
	v_addc_co_u32_e64 v94, s[2:3], 0, v0, s[2:3]
	v_mov_b32_e32 v92, s13
	s_movk_i32 s2, 0x60
	v_mov_b32_e32 v91, s12
	v_mad_u64_u32 v[52:53], s[4:5], v217, s2, v[91:92]
	s_waitcnt lgkmcnt(0)
	; wave barrier
	s_waitcnt lgkmcnt(0)
	ds_read_b128 v[8:11], v190
	ds_read_b128 v[20:23], v190 offset:2640
	ds_read_b128 v[24:27], v190 offset:5280
	;; [unrolled: 1-line block ×20, first 2 shown]
	buffer_store_dword v217, off, s[48:51], 0 offset:56 ; 4-byte Folded Spill
	global_load_dwordx4 v[136:139], v[52:53], off offset:752
	global_load_dwordx4 v[140:143], v[52:53], off offset:736
	;; [unrolled: 1-line block ×6, first 2 shown]
	s_movk_i32 s3, 0x95
	s_mov_b32 s16, 0xe976ee23
	s_mov_b32 s17, 0xbfe11646
	;; [unrolled: 1-line block ×18, first 2 shown]
	v_lshlrev_b32_e32 v90, 5, v217
	s_waitcnt vmcnt(2) lgkmcnt(14)
	v_mul_f64 v[60:61], v[22:23], v[154:155]
	v_fma_f64 v[99:100], v[20:21], v[152:153], -v[60:61]
	v_mul_f64 v[20:21], v[20:21], v[154:155]
	v_fma_f64 v[101:102], v[22:23], v[152:153], v[20:21]
	v_mul_f64 v[20:21], v[26:27], v[146:147]
	v_fma_f64 v[103:104], v[24:25], v[144:145], -v[20:21]
	v_mul_f64 v[20:21], v[24:25], v[146:147]
	v_fma_f64 v[105:106], v[26:27], v[144:145], v[20:21]
	;; [unrolled: 4-line block ×4, first 2 shown]
	s_waitcnt vmcnt(0)
	v_mul_f64 v[20:21], v[38:39], v[162:163]
	v_fma_f64 v[115:116], v[36:37], v[160:161], -v[20:21]
	v_mul_f64 v[20:21], v[36:37], v[162:163]
	v_fma_f64 v[117:118], v[38:39], v[160:161], v[20:21]
	v_mul_f64 v[20:21], v[42:43], v[150:151]
	v_fma_f64 v[119:120], v[40:41], v[148:149], -v[20:21]
	v_mul_f64 v[20:21], v[40:41], v[150:151]
	v_fma_f64 v[121:122], v[42:43], v[148:149], v[20:21]
	s_waitcnt lgkmcnt(12)
	v_mul_f64 v[20:21], v[46:47], v[154:155]
	v_fma_f64 v[36:37], v[44:45], v[152:153], -v[20:21]
	v_mul_f64 v[20:21], v[44:45], v[154:155]
	v_fma_f64 v[42:43], v[46:47], v[152:153], v[20:21]
	s_waitcnt lgkmcnt(11)
	;; [unrolled: 5-line block ×6, first 2 shown]
	v_mul_f64 v[20:21], v[74:75], v[150:151]
	v_fma_f64 v[58:59], v[72:73], v[148:149], -v[20:21]
	v_mul_f64 v[20:21], v[72:73], v[150:151]
	v_fma_f64 v[60:61], v[74:75], v[148:149], v[20:21]
	v_mul_lo_u16_sdwa v20, v200, s3 dst_sel:DWORD dst_unused:UNUSED_PAD src0_sel:BYTE_0 src1_sel:DWORD
	v_lshrrev_b16_e32 v20, 13, v20
	v_mul_lo_u16_e32 v20, 55, v20
	v_sub_u16_e32 v20, v200, v20
	v_and_b32_e32 v64, 0xff, v20
	v_mad_u64_u32 v[65:66], s[2:3], v64, s2, v[91:92]
	global_load_dwordx4 v[67:70], v[65:66], off offset:752
	global_load_dwordx4 v[32:35], v[65:66], off offset:736
	;; [unrolled: 1-line block ×4, first 2 shown]
	s_mov_b32 s2, 0x36b3c0b5
	s_mov_b32 s3, 0x3fac98ee
	s_waitcnt vmcnt(0) lgkmcnt(5)
	v_mul_f64 v[20:21], v[78:79], v[26:27]
	v_mul_f64 v[22:23], v[76:77], v[26:27]
	v_fma_f64 v[20:21], v[76:77], v[24:25], -v[20:21]
	buffer_store_dword v24, off, s[48:51], 0 offset:576 ; 4-byte Folded Spill
	s_nop 0
	buffer_store_dword v25, off, s[48:51], 0 offset:580 ; 4-byte Folded Spill
	buffer_store_dword v26, off, s[48:51], 0 offset:584 ; 4-byte Folded Spill
	;; [unrolled: 1-line block ×3, first 2 shown]
	v_add_f64 v[75:76], v[109:110], v[113:114]
	v_fma_f64 v[26:27], v[78:79], v[24:25], v[22:23]
	s_waitcnt lgkmcnt(4)
	v_mul_f64 v[22:23], v[82:83], v[30:31]
	v_mul_f64 v[24:25], v[80:81], v[30:31]
	v_add_f64 v[77:78], v[111:112], -v[107:108]
	v_fma_f64 v[22:23], v[80:81], v[28:29], -v[22:23]
	buffer_store_dword v28, off, s[48:51], 0 offset:560 ; 4-byte Folded Spill
	s_nop 0
	buffer_store_dword v29, off, s[48:51], 0 offset:564 ; 4-byte Folded Spill
	buffer_store_dword v30, off, s[48:51], 0 offset:568 ; 4-byte Folded Spill
	;; [unrolled: 1-line block ×3, first 2 shown]
	s_waitcnt lgkmcnt(3)
	v_mul_f64 v[30:31], v[84:85], v[34:35]
	v_add_f64 v[79:80], v[113:114], -v[109:110]
	v_fma_f64 v[28:29], v[82:83], v[28:29], v[24:25]
	v_mul_f64 v[24:25], v[86:87], v[34:35]
	v_fma_f64 v[24:25], v[84:85], v[32:33], -v[24:25]
	buffer_store_dword v32, off, s[48:51], 0 offset:544 ; 4-byte Folded Spill
	s_nop 0
	buffer_store_dword v33, off, s[48:51], 0 offset:548 ; 4-byte Folded Spill
	buffer_store_dword v34, off, s[48:51], 0 offset:552 ; 4-byte Folded Spill
	;; [unrolled: 1-line block ×3, first 2 shown]
	s_waitcnt lgkmcnt(2)
	v_mul_f64 v[34:35], v[95:96], v[69:70]
	v_fma_f64 v[30:31], v[86:87], v[32:33], v[30:31]
	v_mul_f64 v[32:33], v[97:98], v[69:70]
	v_fma_f64 v[32:33], v[95:96], v[67:68], -v[32:33]
	buffer_store_dword v67, off, s[48:51], 0 offset:528 ; 4-byte Folded Spill
	s_nop 0
	buffer_store_dword v68, off, s[48:51], 0 offset:532 ; 4-byte Folded Spill
	buffer_store_dword v69, off, s[48:51], 0 offset:536 ; 4-byte Folded Spill
	;; [unrolled: 1-line block ×3, first 2 shown]
	v_fma_f64 v[34:35], v[97:98], v[67:68], v[34:35]
	global_load_dwordx4 v[67:70], v[65:66], off offset:784
	global_load_dwordx4 v[71:74], v[65:66], off offset:768
	s_waitcnt vmcnt(0) lgkmcnt(1)
	v_mul_f64 v[65:66], v[18:19], v[73:74]
	v_fma_f64 v[85:86], v[16:17], v[71:72], -v[65:66]
	v_mul_f64 v[16:17], v[16:17], v[73:74]
	buffer_store_dword v71, off, s[48:51], 0 offset:592 ; 4-byte Folded Spill
	s_nop 0
	buffer_store_dword v72, off, s[48:51], 0 offset:596 ; 4-byte Folded Spill
	buffer_store_dword v73, off, s[48:51], 0 offset:600 ; 4-byte Folded Spill
	;; [unrolled: 1-line block ×3, first 2 shown]
	v_add_f64 v[65:66], v[103:104], v[115:116]
	v_add_f64 v[73:74], v[107:108], v[111:112]
	v_fma_f64 v[91:92], v[18:19], v[71:72], v[16:17]
	s_waitcnt lgkmcnt(0)
	v_mul_f64 v[16:17], v[14:15], v[69:70]
	v_add_f64 v[71:72], v[105:106], -v[117:118]
	v_add_f64 v[18:19], v[101:102], -v[121:122]
	v_fma_f64 v[95:96], v[12:13], v[67:68], -v[16:17]
	v_mul_f64 v[12:13], v[12:13], v[69:70]
	buffer_store_dword v67, off, s[48:51], 0 offset:496 ; 4-byte Folded Spill
	s_nop 0
	buffer_store_dword v68, off, s[48:51], 0 offset:500 ; 4-byte Folded Spill
	buffer_store_dword v69, off, s[48:51], 0 offset:504 ; 4-byte Folded Spill
	;; [unrolled: 1-line block ×3, first 2 shown]
	v_add_f64 v[69:70], v[103:104], -v[115:116]
	v_add_f64 v[16:17], v[99:100], -v[119:120]
	;; [unrolled: 1-line block ×3, first 2 shown]
	s_waitcnt lgkmcnt(0)
	; wave barrier
	v_add_f64 v[103:104], v[77:78], v[69:70]
	v_add_f64 v[107:108], v[77:78], -v[69:70]
	v_add_f64 v[77:78], v[16:17], -v[77:78]
	;; [unrolled: 1-line block ×3, first 2 shown]
	v_add_f64 v[16:17], v[103:104], v[16:17]
	v_mul_f64 v[103:104], v[107:108], s[16:17]
	v_mul_f64 v[107:108], v[69:70], s[14:15]
	v_fma_f64 v[69:70], v[69:70], s[14:15], -v[103:104]
	v_fma_f64 v[97:98], v[14:15], v[67:68], v[12:13]
	v_add_f64 v[12:13], v[99:100], v[119:120]
	v_add_f64 v[14:15], v[101:102], v[121:122]
	;; [unrolled: 1-line block ×4, first 2 shown]
	v_add_f64 v[79:80], v[18:19], -v[79:80]
	v_add_f64 v[71:72], v[71:72], -v[18:19]
	v_add_f64 v[81:82], v[65:66], v[12:13]
	v_add_f64 v[99:100], v[65:66], -v[12:13]
	v_add_f64 v[83:84], v[67:68], v[14:15]
	v_add_f64 v[101:102], v[67:68], -v[14:15]
	v_add_f64 v[12:13], v[12:13], -v[73:74]
	;; [unrolled: 1-line block ×5, first 2 shown]
	v_add_f64 v[73:74], v[73:74], v[81:82]
	v_add_f64 v[18:19], v[105:106], v[18:19]
	;; [unrolled: 1-line block ×3, first 2 shown]
	v_mul_f64 v[105:106], v[109:110], s[16:17]
	v_mul_f64 v[12:13], v[12:13], s[4:5]
	;; [unrolled: 1-line block ×5, first 2 shown]
	v_add_f64 v[8:9], v[8:9], v[73:74]
	v_mul_f64 v[109:110], v[71:72], s[14:15]
	v_add_f64 v[10:11], v[10:11], v[75:76]
	v_fma_f64 v[71:72], v[71:72], s[14:15], -v[105:106]
	v_fma_f64 v[65:66], v[65:66], s[2:3], v[12:13]
	v_fma_f64 v[67:68], v[67:68], s[2:3], v[14:15]
	v_fma_f64 v[81:82], v[99:100], s[20:21], -v[81:82]
	v_fma_f64 v[83:84], v[101:102], s[20:21], -v[83:84]
	v_fma_f64 v[73:74], v[73:74], s[18:19], v[8:9]
	v_fma_f64 v[12:13], v[99:100], s[24:25], -v[12:13]
	v_fma_f64 v[75:76], v[75:76], s[18:19], v[10:11]
	v_fma_f64 v[99:100], v[77:78], s[26:27], v[103:104]
	v_fma_f64 v[77:78], v[77:78], s[28:29], -v[107:108]
	v_fma_f64 v[107:108], v[16:17], s[22:23], v[69:70]
	v_fma_f64 v[69:70], v[18:19], s[22:23], v[71:72]
	v_fma_f64 v[14:15], v[101:102], s[24:25], -v[14:15]
	v_add_f64 v[81:82], v[81:82], v[73:74]
	v_fma_f64 v[101:102], v[79:80], s[26:27], v[105:106]
	v_add_f64 v[83:84], v[83:84], v[75:76]
	v_fma_f64 v[79:80], v[79:80], s[28:29], -v[109:110]
	v_add_f64 v[103:104], v[65:66], v[73:74]
	v_add_f64 v[105:106], v[67:68], v[75:76]
	;; [unrolled: 1-line block ×4, first 2 shown]
	v_add_f64 v[65:66], v[81:82], -v[69:70]
	v_add_f64 v[69:70], v[69:70], v[81:82]
	v_add_f64 v[67:68], v[107:108], v[83:84]
	v_add_f64 v[71:72], v[83:84], -v[107:108]
	v_add_f64 v[81:82], v[36:37], v[58:59]
	v_add_f64 v[83:84], v[42:43], v[60:61]
	v_add_f64 v[36:37], v[36:37], -v[58:59]
	v_add_f64 v[42:43], v[42:43], -v[60:61]
	v_add_f64 v[58:59], v[38:39], v[52:53]
	v_add_f64 v[60:61], v[44:45], v[56:57]
	v_fma_f64 v[99:100], v[16:17], s[22:23], v[99:100]
	v_fma_f64 v[101:102], v[18:19], s[22:23], v[101:102]
	;; [unrolled: 1-line block ×4, first 2 shown]
	v_add_f64 v[38:39], v[38:39], -v[52:53]
	v_add_f64 v[44:45], v[44:45], -v[56:57]
	v_add_f64 v[52:53], v[40:41], v[48:49]
	v_add_f64 v[56:57], v[46:47], v[50:51]
	v_add_f64 v[40:41], v[48:49], -v[40:41]
	v_add_f64 v[46:47], v[50:51], -v[46:47]
	v_add_f64 v[48:49], v[58:59], v[81:82]
	v_add_f64 v[50:51], v[60:61], v[83:84]
	;; [unrolled: 1-line block ×3, first 2 shown]
	v_add_f64 v[14:15], v[105:106], -v[99:100]
	v_add_f64 v[16:17], v[79:80], v[73:74]
	v_add_f64 v[18:19], v[75:76], -v[77:78]
	v_add_f64 v[73:74], v[73:74], -v[79:80]
	v_add_f64 v[75:76], v[77:78], v[75:76]
	v_add_f64 v[77:78], v[103:104], -v[101:102]
	v_add_f64 v[79:80], v[99:100], v[105:106]
	v_add_f64 v[99:100], v[58:59], -v[81:82]
	v_add_f64 v[101:102], v[60:61], -v[83:84]
	;; [unrolled: 1-line block ×6, first 2 shown]
	v_add_f64 v[103:104], v[40:41], v[38:39]
	v_add_f64 v[105:106], v[46:47], v[44:45]
	v_add_f64 v[107:108], v[40:41], -v[38:39]
	v_add_f64 v[109:110], v[46:47], -v[44:45]
	;; [unrolled: 1-line block ×4, first 2 shown]
	v_add_f64 v[48:49], v[52:53], v[48:49]
	v_add_f64 v[50:51], v[56:57], v[50:51]
	v_add_f64 v[40:41], v[36:37], -v[40:41]
	v_add_f64 v[46:47], v[42:43], -v[46:47]
	v_add_f64 v[36:37], v[103:104], v[36:37]
	v_add_f64 v[42:43], v[105:106], v[42:43]
	v_mul_f64 v[52:53], v[81:82], s[4:5]
	v_mul_f64 v[56:57], v[83:84], s[4:5]
	v_add_f64 v[4:5], v[4:5], v[48:49]
	v_add_f64 v[6:7], v[6:7], v[50:51]
	v_mul_f64 v[81:82], v[58:59], s[2:3]
	v_mul_f64 v[83:84], v[60:61], s[2:3]
	;; [unrolled: 1-line block ×6, first 2 shown]
	v_fma_f64 v[48:49], v[48:49], s[18:19], v[4:5]
	v_fma_f64 v[50:51], v[50:51], s[18:19], v[6:7]
	;; [unrolled: 1-line block ×4, first 2 shown]
	v_fma_f64 v[81:82], v[99:100], s[20:21], -v[81:82]
	v_fma_f64 v[83:84], v[101:102], s[20:21], -v[83:84]
	;; [unrolled: 1-line block ×4, first 2 shown]
	v_fma_f64 v[99:100], v[40:41], s[26:27], v[103:104]
	v_fma_f64 v[101:102], v[46:47], s[26:27], v[105:106]
	v_fma_f64 v[44:45], v[44:45], s[14:15], -v[105:106]
	v_fma_f64 v[40:41], v[40:41], s[28:29], -v[107:108]
	;; [unrolled: 1-line block ×4, first 2 shown]
	v_add_f64 v[103:104], v[58:59], v[48:49]
	v_add_f64 v[60:61], v[60:61], v[50:51]
	;; [unrolled: 1-line block ×6, first 2 shown]
	v_fma_f64 v[99:100], v[36:37], s[22:23], v[99:100]
	v_fma_f64 v[48:49], v[42:43], s[22:23], v[44:45]
	;; [unrolled: 1-line block ×6, first 2 shown]
	v_add_f64 v[38:39], v[60:61], -v[99:100]
	v_add_f64 v[44:45], v[58:59], -v[48:49]
	;; [unrolled: 1-line block ×3, first 2 shown]
	v_add_f64 v[40:41], v[56:57], v[52:53]
	v_add_f64 v[48:49], v[48:49], v[58:59]
	v_add_f64 v[56:57], v[52:53], -v[56:57]
	v_add_f64 v[58:59], v[105:106], v[83:84]
	v_add_f64 v[83:84], v[99:100], v[60:61]
	v_add_f64 v[52:53], v[20:21], v[95:96]
	v_add_f64 v[60:61], v[26:27], v[97:98]
	v_add_f64 v[20:21], v[20:21], -v[95:96]
	v_add_f64 v[26:27], v[26:27], -v[97:98]
	v_add_f64 v[95:96], v[22:23], v[85:86]
	v_add_f64 v[97:98], v[28:29], v[91:92]
	v_add_f64 v[22:23], v[22:23], -v[85:86]
	v_add_f64 v[28:29], v[28:29], -v[91:92]
	v_add_f64 v[85:86], v[24:25], v[32:33]
	v_add_f64 v[91:92], v[30:31], v[34:35]
	;; [unrolled: 4-line block ×3, first 2 shown]
	v_add_f64 v[36:37], v[101:102], v[103:104]
	v_add_f64 v[46:47], v[50:51], v[81:82]
	v_add_f64 v[50:51], v[81:82], -v[50:51]
	v_add_f64 v[81:82], v[103:104], -v[101:102]
	v_add_f64 v[99:100], v[95:96], -v[52:53]
	v_add_f64 v[101:102], v[97:98], -v[60:61]
	v_add_f64 v[52:53], v[52:53], -v[85:86]
	v_add_f64 v[60:61], v[60:61], -v[91:92]
	v_add_f64 v[95:96], v[85:86], -v[95:96]
	v_add_f64 v[97:98], v[91:92], -v[97:98]
	v_add_f64 v[103:104], v[24:25], v[22:23]
	v_add_f64 v[105:106], v[30:31], v[28:29]
	v_add_f64 v[107:108], v[24:25], -v[22:23]
	v_add_f64 v[109:110], v[30:31], -v[28:29]
	v_add_f64 v[32:33], v[85:86], v[32:33]
	v_add_f64 v[34:35], v[91:92], v[34:35]
	v_add_f64 v[22:23], v[22:23], -v[20:21]
	v_add_f64 v[28:29], v[28:29], -v[26:27]
	;; [unrolled: 1-line block ×4, first 2 shown]
	v_add_f64 v[20:21], v[103:104], v[20:21]
	v_add_f64 v[26:27], v[105:106], v[26:27]
	;; [unrolled: 1-line block ×4, first 2 shown]
	v_mul_f64 v[52:53], v[52:53], s[4:5]
	v_mul_f64 v[60:61], v[60:61], s[4:5]
	;; [unrolled: 1-line block ×8, first 2 shown]
	v_fma_f64 v[32:33], v[32:33], s[18:19], v[0:1]
	v_fma_f64 v[34:35], v[34:35], s[18:19], v[2:3]
	;; [unrolled: 1-line block ×4, first 2 shown]
	v_fma_f64 v[85:86], v[99:100], s[20:21], -v[85:86]
	v_fma_f64 v[91:92], v[101:102], s[20:21], -v[91:92]
	;; [unrolled: 1-line block ×4, first 2 shown]
	v_fma_f64 v[99:100], v[24:25], s[26:27], v[103:104]
	v_fma_f64 v[101:102], v[30:31], s[26:27], v[105:106]
	v_fma_f64 v[22:23], v[22:23], s[14:15], -v[103:104]
	v_fma_f64 v[24:25], v[24:25], s[28:29], -v[107:108]
	;; [unrolled: 1-line block ×4, first 2 shown]
	v_add_f64 v[103:104], v[95:96], v[32:33]
	v_add_f64 v[105:106], v[97:98], v[34:35]
	v_fma_f64 v[107:108], v[20:21], s[22:23], v[99:100]
	v_fma_f64 v[99:100], v[26:27], s[22:23], v[101:102]
	v_add_f64 v[91:92], v[91:92], v[34:35]
	v_add_f64 v[52:53], v[52:53], v[32:33]
	;; [unrolled: 1-line block ×3, first 2 shown]
	v_fma_f64 v[34:35], v[20:21], s[22:23], v[22:23]
	v_fma_f64 v[97:98], v[20:21], s[22:23], v[24:25]
	;; [unrolled: 1-line block ×3, first 2 shown]
	v_add_f64 v[85:86], v[85:86], v[32:33]
	v_fma_f64 v[32:33], v[26:27], s[22:23], v[28:29]
	v_add_f64 v[20:21], v[99:100], v[103:104]
	v_add_f64 v[99:100], v[103:104], -v[99:100]
	v_add_f64 v[101:102], v[107:108], v[105:106]
	v_add_f64 v[22:23], v[105:106], -v[107:108]
	v_add_f64 v[26:27], v[60:61], -v[97:98]
	v_add_f64 v[24:25], v[95:96], v[52:53]
	v_add_f64 v[30:31], v[34:35], v[91:92]
	v_add_f64 v[34:35], v[91:92], -v[34:35]
	v_add_f64 v[97:98], v[97:98], v[60:61]
	v_add_co_u32_e64 v60, s[2:3], s12, v90
	v_mov_b32_e32 v91, s13
	v_add_f64 v[28:29], v[85:86], -v[32:33]
	v_addc_co_u32_e64 v61, s[2:3], 0, v91, s[2:3]
	s_movk_i32 s4, 0x1760
	v_add_f64 v[32:33], v[32:33], v[85:86]
	v_add_f64 v[95:96], v[52:53], -v[95:96]
	v_add_co_u32_e64 v52, s[2:3], s4, v60
	v_addc_co_u32_e64 v53, s[2:3], 0, v61, s[2:3]
	s_movk_i32 s13, 0x1000
	v_add_co_u32_e64 v60, s[2:3], s13, v60
	ds_write_b128 v190, v[8:11]
	ds_write_b128 v190, v[12:15] offset:880
	ds_write_b128 v190, v[16:19] offset:1760
	;; [unrolled: 1-line block ×13, first 2 shown]
	v_lshlrev_b32_e32 v4, 4, v64
	v_addc_co_u32_e64 v61, s[2:3], 0, v61, s[2:3]
	ds_write_b128 v4, v[0:3] offset:12320
	ds_write_b128 v4, v[20:23] offset:13200
	;; [unrolled: 1-line block ×6, first 2 shown]
	buffer_store_dword v4, off, s[48:51], 0 offset:608 ; 4-byte Folded Spill
	ds_write_b128 v4, v[99:102] offset:17600
	s_waitcnt lgkmcnt(0)
	; wave barrier
	s_waitcnt lgkmcnt(0)
	ds_read_b128 v[24:27], v190
	ds_read_b128 v[40:43], v190 offset:6160
	ds_read_b128 v[44:47], v190 offset:12320
	;; [unrolled: 1-line block ×20, first 2 shown]
	global_load_dwordx4 v[70:73], v[60:61], off offset:1888
	global_load_dwordx4 v[74:77], v[52:53], off offset:16
	s_mov_b32 s5, 0xbfebb67a
	s_waitcnt vmcnt(1) lgkmcnt(14)
	v_mul_f64 v[52:53], v[42:43], v[72:73]
	v_fma_f64 v[80:81], v[40:41], v[70:71], -v[52:53]
	v_mul_f64 v[40:41], v[40:41], v[72:73]
	buffer_store_dword v70, off, s[48:51], 0 offset:612 ; 4-byte Folded Spill
	s_nop 0
	buffer_store_dword v71, off, s[48:51], 0 offset:616 ; 4-byte Folded Spill
	buffer_store_dword v72, off, s[48:51], 0 offset:620 ; 4-byte Folded Spill
	;; [unrolled: 1-line block ×3, first 2 shown]
	v_fma_f64 v[82:83], v[42:43], v[70:71], v[40:41]
	s_waitcnt vmcnt(4)
	v_mul_f64 v[40:41], v[46:47], v[76:77]
	v_fma_f64 v[84:85], v[44:45], v[74:75], -v[40:41]
	v_mul_f64 v[40:41], v[44:45], v[76:77]
	buffer_store_dword v74, off, s[48:51], 0 offset:628 ; 4-byte Folded Spill
	s_nop 0
	buffer_store_dword v75, off, s[48:51], 0 offset:632 ; 4-byte Folded Spill
	buffer_store_dword v76, off, s[48:51], 0 offset:636 ; 4-byte Folded Spill
	;; [unrolled: 1-line block ×3, first 2 shown]
	v_fma_f64 v[86:87], v[46:47], v[74:75], v[40:41]
	v_lshlrev_b32_e32 v40, 5, v192
	v_add_co_u32_e64 v42, s[2:3], s12, v40
	v_addc_co_u32_e64 v43, s[2:3], 0, v91, s[2:3]
	v_add_co_u32_e64 v40, s[2:3], s4, v42
	v_addc_co_u32_e64 v41, s[2:3], 0, v43, s[2:3]
	;; [unrolled: 2-line block ×3, first 2 shown]
	global_load_dwordx4 v[196:199], v[42:43], off offset:1888
	global_load_dwordx4 v[192:195], v[40:41], off offset:16
	s_waitcnt vmcnt(1)
	v_mul_f64 v[40:41], v[50:51], v[198:199]
	v_fma_f64 v[72:73], v[48:49], v[196:197], -v[40:41]
	v_mul_f64 v[40:41], v[48:49], v[198:199]
	v_fma_f64 v[74:75], v[50:51], v[196:197], v[40:41]
	s_waitcnt vmcnt(0)
	v_mul_f64 v[40:41], v[58:59], v[194:195]
	v_fma_f64 v[76:77], v[56:57], v[192:193], -v[40:41]
	v_mul_f64 v[40:41], v[56:57], v[194:195]
	v_fma_f64 v[78:79], v[58:59], v[192:193], v[40:41]
	v_lshlrev_b64 v[40:41], 5, v[200:201]
	v_add_co_u32_e64 v42, s[2:3], s12, v40
	v_addc_co_u32_e64 v43, s[2:3], v91, v41, s[2:3]
	v_add_co_u32_e64 v40, s[2:3], s4, v42
	v_addc_co_u32_e64 v41, s[2:3], 0, v43, s[2:3]
	v_add_co_u32_e64 v42, s[2:3], s13, v42
	v_addc_co_u32_e64 v43, s[2:3], 0, v43, s[2:3]
	global_load_dwordx4 v[200:203], v[42:43], off offset:1888
	global_load_dwordx4 v[204:207], v[40:41], off offset:16
	s_waitcnt vmcnt(1) lgkmcnt(13)
	v_mul_f64 v[40:41], v[68:69], v[202:203]
	v_fma_f64 v[64:65], v[66:67], v[200:201], -v[40:41]
	v_mul_f64 v[40:41], v[66:67], v[202:203]
	v_fma_f64 v[66:67], v[68:69], v[200:201], v[40:41]
	s_waitcnt vmcnt(0) lgkmcnt(12)
	v_mul_f64 v[40:41], v[97:98], v[206:207]
	v_fma_f64 v[68:69], v[95:96], v[204:205], -v[40:41]
	v_mul_f64 v[40:41], v[95:96], v[206:207]
	v_fma_f64 v[70:71], v[97:98], v[204:205], v[40:41]
	v_lshlrev_b64 v[40:41], 5, v[62:63]
	v_add_co_u32_e64 v42, s[2:3], s12, v40
	v_addc_co_u32_e64 v43, s[2:3], v91, v41, s[2:3]
	v_add_co_u32_e64 v40, s[2:3], s4, v42
	v_addc_co_u32_e64 v41, s[2:3], 0, v43, s[2:3]
	v_add_co_u32_e64 v42, s[2:3], s13, v42
	v_addc_co_u32_e64 v43, s[2:3], 0, v43, s[2:3]
	global_load_dwordx4 v[212:215], v[42:43], off offset:1888
	global_load_dwordx4 v[208:211], v[40:41], off offset:16
	s_waitcnt vmcnt(1) lgkmcnt(10)
	v_mul_f64 v[40:41], v[101:102], v[214:215]
	v_fma_f64 v[56:57], v[99:100], v[212:213], -v[40:41]
	v_mul_f64 v[40:41], v[99:100], v[214:215]
	v_fma_f64 v[58:59], v[101:102], v[212:213], v[40:41]
	s_waitcnt vmcnt(0) lgkmcnt(9)
	v_mul_f64 v[40:41], v[105:106], v[210:211]
	v_fma_f64 v[60:61], v[103:104], v[208:209], -v[40:41]
	v_mul_f64 v[40:41], v[103:104], v[210:211]
	v_fma_f64 v[62:63], v[105:106], v[208:209], v[40:41]
	v_lshlrev_b64 v[40:41], 5, v[54:55]
	v_add_co_u32_e64 v42, s[2:3], s12, v40
	v_addc_co_u32_e64 v43, s[2:3], v91, v41, s[2:3]
	v_add_co_u32_e64 v40, s[2:3], s4, v42
	v_addc_co_u32_e64 v41, s[2:3], 0, v43, s[2:3]
	v_add_co_u32_e64 v42, s[2:3], s13, v42
	v_addc_co_u32_e64 v43, s[2:3], 0, v43, s[2:3]
	global_load_dwordx4 v[216:219], v[42:43], off offset:1888
	global_load_dwordx4 v[220:223], v[40:41], off offset:16
	s_waitcnt vmcnt(1) lgkmcnt(7)
	v_mul_f64 v[40:41], v[109:110], v[218:219]
	v_fma_f64 v[48:49], v[107:108], v[216:217], -v[40:41]
	v_mul_f64 v[40:41], v[107:108], v[218:219]
	v_fma_f64 v[50:51], v[109:110], v[216:217], v[40:41]
	s_waitcnt vmcnt(0) lgkmcnt(6)
	v_mul_f64 v[40:41], v[113:114], v[222:223]
	v_fma_f64 v[52:53], v[111:112], v[220:221], -v[40:41]
	v_mul_f64 v[40:41], v[111:112], v[222:223]
	v_fma_f64 v[54:55], v[113:114], v[220:221], v[40:41]
	v_add_u32_e32 v40, 0x2260, v90
	v_add_co_u32_e64 v42, s[2:3], s12, v40
	v_addc_co_u32_e64 v43, s[2:3], 0, v91, s[2:3]
	v_add_co_u32_e64 v40, s[2:3], s4, v42
	v_addc_co_u32_e64 v41, s[2:3], 0, v43, s[2:3]
	;; [unrolled: 2-line block ×3, first 2 shown]
	global_load_dwordx4 v[228:231], v[42:43], off offset:1888
	global_load_dwordx4 v[224:227], v[40:41], off offset:16
	s_waitcnt vmcnt(1) lgkmcnt(4)
	v_mul_f64 v[40:41], v[117:118], v[230:231]
	s_waitcnt vmcnt(0) lgkmcnt(3)
	v_mul_f64 v[44:45], v[38:39], v[226:227]
	v_mul_f64 v[42:43], v[115:116], v[230:231]
	v_fma_f64 v[40:41], v[115:116], v[228:229], -v[40:41]
	v_fma_f64 v[44:45], v[36:37], v[224:225], -v[44:45]
	v_mul_f64 v[36:37], v[36:37], v[226:227]
	v_fma_f64 v[42:43], v[117:118], v[228:229], v[42:43]
	v_fma_f64 v[46:47], v[38:39], v[224:225], v[36:37]
	v_add_u32_e32 v36, 0x2940, v90
	v_add_co_u32_e64 v38, s[2:3], s12, v36
	v_addc_co_u32_e64 v39, s[2:3], 0, v91, s[2:3]
	v_add_co_u32_e64 v36, s[2:3], s4, v38
	v_addc_co_u32_e64 v37, s[2:3], 0, v39, s[2:3]
	;; [unrolled: 2-line block ×3, first 2 shown]
	global_load_dwordx4 v[232:235], v[38:39], off offset:1888
	global_load_dwordx4 v[236:239], v[36:37], off offset:16
	s_mov_b32 s2, 0xe8584caa
	s_mov_b32 s3, 0x3febb67a
	;; [unrolled: 1-line block ×3, first 2 shown]
	s_movk_i32 s12, 0x4000
	s_waitcnt vmcnt(1) lgkmcnt(1)
	v_mul_f64 v[36:37], v[34:35], v[234:235]
	v_fma_f64 v[90:91], v[32:33], v[232:233], -v[36:37]
	v_mul_f64 v[32:33], v[32:33], v[234:235]
	v_fma_f64 v[103:104], v[34:35], v[232:233], v[32:33]
	s_waitcnt vmcnt(0) lgkmcnt(0)
	v_mul_f64 v[32:33], v[30:31], v[238:239]
	v_fma_f64 v[92:93], v[28:29], v[236:237], -v[32:33]
	v_mul_f64 v[28:29], v[28:29], v[238:239]
	v_fma_f64 v[105:106], v[30:31], v[236:237], v[28:29]
	v_add_f64 v[30:31], v[80:81], v[84:85]
	v_add_f64 v[28:29], v[24:25], v[80:81]
	v_fma_f64 v[24:25], v[30:31], -0.5, v[24:25]
	v_add_f64 v[30:31], v[82:83], -v[86:87]
	v_add_f64 v[28:29], v[28:29], v[84:85]
	v_fma_f64 v[36:37], v[30:31], s[2:3], v[24:25]
	v_fma_f64 v[32:33], v[30:31], s[4:5], v[24:25]
	v_add_f64 v[24:25], v[26:27], v[82:83]
	v_add_f64 v[30:31], v[24:25], v[86:87]
	;; [unrolled: 1-line block ×3, first 2 shown]
	v_fma_f64 v[24:25], v[24:25], -0.5, v[26:27]
	v_add_f64 v[26:27], v[80:81], -v[84:85]
	v_fma_f64 v[38:39], v[26:27], s[4:5], v[24:25]
	v_fma_f64 v[34:35], v[26:27], s[2:3], v[24:25]
	v_add_f64 v[24:25], v[16:17], v[72:73]
	v_add_f64 v[26:27], v[103:104], v[105:106]
	;; [unrolled: 1-line block ×4, first 2 shown]
	v_fma_f64 v[16:17], v[24:25], -0.5, v[16:17]
	v_add_f64 v[24:25], v[74:75], -v[78:79]
	v_fma_f64 v[84:85], v[24:25], s[2:3], v[16:17]
	v_fma_f64 v[95:96], v[24:25], s[4:5], v[16:17]
	v_add_f64 v[16:17], v[18:19], v[74:75]
	v_add_f64 v[82:83], v[16:17], v[78:79]
	v_add_f64 v[16:17], v[74:75], v[78:79]
	v_fma_f64 v[16:17], v[16:17], -0.5, v[18:19]
	v_add_f64 v[18:19], v[72:73], -v[76:77]
	v_fma_f64 v[86:87], v[18:19], s[4:5], v[16:17]
	v_fma_f64 v[97:98], v[18:19], s[2:3], v[16:17]
	v_add_f64 v[16:17], v[12:13], v[64:65]
	v_add_f64 v[18:19], v[90:91], v[92:93]
	;; [unrolled: 1-line block ×4, first 2 shown]
	v_fma_f64 v[18:19], v[18:19], -0.5, v[20:21]
	v_fma_f64 v[12:13], v[16:17], -0.5, v[12:13]
	v_add_f64 v[16:17], v[66:67], -v[70:71]
	v_fma_f64 v[76:77], v[16:17], s[2:3], v[12:13]
	v_fma_f64 v[99:100], v[16:17], s[4:5], v[12:13]
	v_add_f64 v[12:13], v[14:15], v[66:67]
	v_add_f64 v[16:17], v[40:41], -v[44:45]
	v_add_f64 v[74:75], v[12:13], v[70:71]
	v_add_f64 v[12:13], v[66:67], v[70:71]
	v_fma_f64 v[12:13], v[12:13], -0.5, v[14:15]
	v_add_f64 v[14:15], v[64:65], -v[68:69]
	v_fma_f64 v[78:79], v[14:15], s[4:5], v[12:13]
	v_fma_f64 v[101:102], v[14:15], s[2:3], v[12:13]
	v_add_f64 v[12:13], v[4:5], v[56:57]
	v_add_f64 v[14:15], v[42:43], v[46:47]
	v_add_f64 v[64:65], v[12:13], v[60:61]
	v_add_f64 v[12:13], v[56:57], v[60:61]
	v_fma_f64 v[4:5], v[12:13], -0.5, v[4:5]
	v_add_f64 v[12:13], v[58:59], -v[62:63]
	v_fma_f64 v[68:69], v[12:13], s[2:3], v[4:5]
	v_fma_f64 v[244:245], v[12:13], s[4:5], v[4:5]
	v_add_f64 v[4:5], v[6:7], v[58:59]
	v_add_f64 v[66:67], v[4:5], v[62:63]
	;; [unrolled: 1-line block ×3, first 2 shown]
	v_fma_f64 v[4:5], v[4:5], -0.5, v[6:7]
	v_add_f64 v[6:7], v[56:57], -v[60:61]
	v_fma_f64 v[70:71], v[6:7], s[4:5], v[4:5]
	v_fma_f64 v[246:247], v[6:7], s[2:3], v[4:5]
	v_add_f64 v[4:5], v[0:1], v[48:49]
	v_add_f64 v[6:7], v[50:51], -v[54:55]
	v_add_f64 v[248:249], v[4:5], v[52:53]
	v_add_f64 v[4:5], v[48:49], v[52:53]
	v_fma_f64 v[4:5], v[4:5], -0.5, v[0:1]
	v_fma_f64 v[0:1], v[6:7], s[2:3], v[4:5]
	v_fma_f64 v[252:253], v[6:7], s[4:5], v[4:5]
	v_add_f64 v[4:5], v[2:3], v[50:51]
	v_add_f64 v[6:7], v[48:49], -v[52:53]
	v_add_f64 v[250:251], v[4:5], v[54:55]
	v_add_f64 v[4:5], v[50:51], v[54:55]
	v_fma_f64 v[4:5], v[4:5], -0.5, v[2:3]
	v_fma_f64 v[2:3], v[6:7], s[4:5], v[4:5]
	v_fma_f64 v[254:255], v[6:7], s[2:3], v[4:5]
	v_add_f64 v[6:7], v[40:41], v[44:45]
	v_add_f64 v[4:5], v[8:9], v[40:41]
	v_add_f64 v[40:41], v[90:91], -v[92:93]
	v_fma_f64 v[6:7], v[6:7], -0.5, v[8:9]
	v_add_f64 v[8:9], v[42:43], -v[46:47]
	v_add_f64 v[4:5], v[4:5], v[44:45]
	v_fma_f64 v[12:13], v[8:9], s[2:3], v[6:7]
	v_fma_f64 v[8:9], v[8:9], s[4:5], v[6:7]
	v_add_f64 v[6:7], v[10:11], v[42:43]
	v_fma_f64 v[10:11], v[14:15], -0.5, v[10:11]
	v_add_f64 v[6:7], v[6:7], v[46:47]
	v_fma_f64 v[14:15], v[16:17], s[4:5], v[10:11]
	v_fma_f64 v[10:11], v[16:17], s[2:3], v[10:11]
	v_add_f64 v[16:17], v[20:21], v[90:91]
	v_add_f64 v[20:21], v[103:104], -v[105:106]
	v_add_f64 v[16:17], v[16:17], v[92:93]
	v_fma_f64 v[24:25], v[20:21], s[2:3], v[18:19]
	v_fma_f64 v[20:21], v[20:21], s[4:5], v[18:19]
	v_add_f64 v[18:19], v[22:23], v[103:104]
	v_fma_f64 v[22:23], v[26:27], -0.5, v[22:23]
	v_add_f64 v[18:19], v[18:19], v[105:106]
	v_fma_f64 v[26:27], v[40:41], s[4:5], v[22:23]
	v_fma_f64 v[22:23], v[40:41], s[2:3], v[22:23]
	s_movk_i32 s2, 0x4830
	ds_write_b128 v190, v[28:31]
	ds_write_b128 v190, v[36:39] offset:6160
	ds_write_b128 v190, v[32:35] offset:12320
	ds_write_b128 v190, v[80:83] offset:880
	ds_write_b128 v190, v[84:87] offset:7040
	ds_write_b128 v190, v[95:98] offset:13200
	ds_write_b128 v190, v[72:75] offset:1760
	ds_write_b128 v190, v[76:79] offset:7920
	ds_write_b128 v190, v[99:102] offset:14080
	ds_write_b128 v190, v[64:67] offset:2640
	ds_write_b128 v190, v[68:71] offset:8800
	ds_write_b128 v190, v[244:247] offset:14960
	ds_write_b128 v190, v[248:251] offset:3520
	ds_write_b128 v190, v[0:3] offset:9680
	ds_write_b128 v190, v[252:255] offset:15840
	ds_write_b128 v190, v[4:7] offset:4400
	ds_write_b128 v190, v[12:15] offset:10560
	ds_write_b128 v190, v[8:11] offset:16720
	ds_write_b128 v190, v[16:19] offset:5280
	ds_write_b128 v190, v[24:27] offset:11440
	ds_write_b128 v190, v[20:23] offset:17600
	v_add_co_u32_e64 v28, s[2:3], s2, v88
	v_addc_co_u32_e64 v29, s[2:3], 0, v94, s[2:3]
	v_add_co_u32_e64 v34, s[2:3], s12, v88
	v_addc_co_u32_e64 v35, s[2:3], 0, v94, s[2:3]
	s_waitcnt lgkmcnt(0)
	; wave barrier
	s_waitcnt lgkmcnt(0)
	global_load_dwordx4 v[34:37], v[34:35], off offset:2096
	ds_read_b128 v[30:33], v190
	s_movk_i32 s2, 0x5000
	s_waitcnt vmcnt(0) lgkmcnt(0)
	v_mul_f64 v[38:39], v[32:33], v[36:37]
	v_fma_f64 v[38:39], v[30:31], v[34:35], -v[38:39]
	v_mul_f64 v[30:31], v[30:31], v[36:37]
	v_fma_f64 v[40:41], v[32:33], v[34:35], v[30:31]
	global_load_dwordx4 v[34:37], v[28:29], off offset:1680
	ds_read_b128 v[30:33], v190 offset:1680
	ds_write_b128 v190, v[38:41]
	s_waitcnt vmcnt(0) lgkmcnt(1)
	v_mul_f64 v[38:39], v[32:33], v[36:37]
	v_fma_f64 v[38:39], v[30:31], v[34:35], -v[38:39]
	v_mul_f64 v[30:31], v[30:31], v[36:37]
	v_fma_f64 v[40:41], v[32:33], v[34:35], v[30:31]
	global_load_dwordx4 v[34:37], v[28:29], off offset:3360
	ds_read_b128 v[30:33], v190 offset:3360
	ds_write_b128 v190, v[38:41] offset:1680
	s_waitcnt vmcnt(0) lgkmcnt(1)
	v_mul_f64 v[38:39], v[32:33], v[36:37]
	v_fma_f64 v[38:39], v[30:31], v[34:35], -v[38:39]
	v_mul_f64 v[30:31], v[30:31], v[36:37]
	v_fma_f64 v[40:41], v[32:33], v[34:35], v[30:31]
	v_add_co_u32_e64 v34, s[2:3], s2, v88
	v_addc_co_u32_e64 v35, s[2:3], 0, v94, s[2:3]
	global_load_dwordx4 v[34:37], v[34:35], off offset:3040
	ds_read_b128 v[30:33], v190 offset:5040
	s_movk_i32 s2, 0x6000
	ds_write_b128 v190, v[38:41] offset:3360
	v_add_co_u32_e64 v42, s[2:3], s2, v88
	v_addc_co_u32_e64 v43, s[2:3], 0, v94, s[2:3]
	s_movk_i32 s2, 0x7000
	s_waitcnt vmcnt(0) lgkmcnt(1)
	v_mul_f64 v[38:39], v[32:33], v[36:37]
	v_fma_f64 v[38:39], v[30:31], v[34:35], -v[38:39]
	v_mul_f64 v[30:31], v[30:31], v[36:37]
	v_fma_f64 v[40:41], v[32:33], v[34:35], v[30:31]
	global_load_dwordx4 v[34:37], v[42:43], off offset:624
	ds_read_b128 v[30:33], v190 offset:6720
	ds_write_b128 v190, v[38:41] offset:5040
	s_waitcnt vmcnt(0) lgkmcnt(1)
	v_mul_f64 v[38:39], v[32:33], v[36:37]
	v_fma_f64 v[38:39], v[30:31], v[34:35], -v[38:39]
	v_mul_f64 v[30:31], v[30:31], v[36:37]
	v_fma_f64 v[40:41], v[32:33], v[34:35], v[30:31]
	global_load_dwordx4 v[34:37], v[42:43], off offset:2304
	ds_read_b128 v[30:33], v190 offset:8400
	ds_write_b128 v190, v[38:41] offset:6720
	s_waitcnt vmcnt(0) lgkmcnt(1)
	v_mul_f64 v[38:39], v[32:33], v[36:37]
	v_fma_f64 v[38:39], v[30:31], v[34:35], -v[38:39]
	v_mul_f64 v[30:31], v[30:31], v[36:37]
	v_fma_f64 v[40:41], v[32:33], v[34:35], v[30:31]
	global_load_dwordx4 v[34:37], v[42:43], off offset:3984
	ds_read_b128 v[30:33], v190 offset:10080
	v_add_co_u32_e64 v42, s[2:3], s2, v88
	v_addc_co_u32_e64 v43, s[2:3], 0, v94, s[2:3]
	s_mov_b32 s2, 0x8000
	ds_write_b128 v190, v[38:41] offset:8400
	s_waitcnt vmcnt(0) lgkmcnt(1)
	v_mul_f64 v[38:39], v[32:33], v[36:37]
	v_fma_f64 v[38:39], v[30:31], v[34:35], -v[38:39]
	v_mul_f64 v[30:31], v[30:31], v[36:37]
	v_fma_f64 v[40:41], v[32:33], v[34:35], v[30:31]
	global_load_dwordx4 v[34:37], v[42:43], off offset:1568
	ds_read_b128 v[30:33], v190 offset:11760
	ds_write_b128 v190, v[38:41] offset:10080
	s_waitcnt vmcnt(0) lgkmcnt(1)
	v_mul_f64 v[38:39], v[32:33], v[36:37]
	v_fma_f64 v[38:39], v[30:31], v[34:35], -v[38:39]
	v_mul_f64 v[30:31], v[30:31], v[36:37]
	v_fma_f64 v[40:41], v[32:33], v[34:35], v[30:31]
	global_load_dwordx4 v[34:37], v[42:43], off offset:3248
	ds_read_b128 v[30:33], v190 offset:13440
	v_add_co_u32_e64 v42, s[2:3], s2, v88
	v_addc_co_u32_e64 v43, s[2:3], 0, v94, s[2:3]
	ds_write_b128 v190, v[38:41] offset:11760
	s_waitcnt vmcnt(0) lgkmcnt(1)
	v_mul_f64 v[38:39], v[32:33], v[36:37]
	v_fma_f64 v[38:39], v[30:31], v[34:35], -v[38:39]
	v_mul_f64 v[30:31], v[30:31], v[36:37]
	v_fma_f64 v[40:41], v[32:33], v[34:35], v[30:31]
	global_load_dwordx4 v[34:37], v[42:43], off offset:832
	ds_read_b128 v[30:33], v190 offset:15120
	ds_write_b128 v190, v[38:41] offset:13440
	s_waitcnt vmcnt(0) lgkmcnt(1)
	v_mul_f64 v[38:39], v[32:33], v[36:37]
	v_fma_f64 v[38:39], v[30:31], v[34:35], -v[38:39]
	v_mul_f64 v[30:31], v[30:31], v[36:37]
	v_fma_f64 v[40:41], v[32:33], v[34:35], v[30:31]
	global_load_dwordx4 v[34:37], v[42:43], off offset:2512
	ds_read_b128 v[30:33], v190 offset:16800
	ds_write_b128 v190, v[38:41] offset:15120
	s_waitcnt vmcnt(0) lgkmcnt(1)
	v_mul_f64 v[38:39], v[32:33], v[36:37]
	v_fma_f64 v[38:39], v[30:31], v[34:35], -v[38:39]
	v_mul_f64 v[30:31], v[30:31], v[36:37]
	v_fma_f64 v[40:41], v[32:33], v[34:35], v[30:31]
	ds_write_b128 v190, v[38:41] offset:16800
	s_and_saveexec_b64 s[4:5], vcc
	s_cbranch_execz .LBB0_13
; %bb.12:
	global_load_dwordx4 v[34:37], v[28:29], off offset:880
	ds_read_b128 v[30:33], v190 offset:880
	v_add_co_u32_e64 v42, s[2:3], s13, v28
	v_addc_co_u32_e64 v43, s[2:3], 0, v29, s[2:3]
	s_movk_i32 s2, 0x2000
	s_waitcnt vmcnt(0) lgkmcnt(0)
	v_mul_f64 v[38:39], v[32:33], v[36:37]
	v_fma_f64 v[38:39], v[30:31], v[34:35], -v[38:39]
	v_mul_f64 v[30:31], v[30:31], v[36:37]
	v_fma_f64 v[40:41], v[32:33], v[34:35], v[30:31]
	global_load_dwordx4 v[34:37], v[28:29], off offset:2560
	ds_read_b128 v[30:33], v190 offset:2560
	ds_write_b128 v190, v[38:41] offset:880
	s_waitcnt vmcnt(0) lgkmcnt(1)
	v_mul_f64 v[38:39], v[32:33], v[36:37]
	v_fma_f64 v[38:39], v[30:31], v[34:35], -v[38:39]
	v_mul_f64 v[30:31], v[30:31], v[36:37]
	v_fma_f64 v[40:41], v[32:33], v[34:35], v[30:31]
	global_load_dwordx4 v[34:37], v[42:43], off offset:144
	ds_read_b128 v[30:33], v190 offset:4240
	ds_write_b128 v190, v[38:41] offset:2560
	;; [unrolled: 8-line block ×3, first 2 shown]
	s_waitcnt vmcnt(0) lgkmcnt(1)
	v_mul_f64 v[38:39], v[32:33], v[36:37]
	v_fma_f64 v[38:39], v[30:31], v[34:35], -v[38:39]
	v_mul_f64 v[30:31], v[30:31], v[36:37]
	v_fma_f64 v[40:41], v[32:33], v[34:35], v[30:31]
	global_load_dwordx4 v[34:37], v[42:43], off offset:3504
	ds_read_b128 v[30:33], v190 offset:7600
	v_add_co_u32_e64 v42, s[2:3], s2, v28
	v_addc_co_u32_e64 v43, s[2:3], 0, v29, s[2:3]
	s_movk_i32 s2, 0x3000
	ds_write_b128 v190, v[38:41] offset:5920
	s_waitcnt vmcnt(0) lgkmcnt(1)
	v_mul_f64 v[38:39], v[32:33], v[36:37]
	v_fma_f64 v[38:39], v[30:31], v[34:35], -v[38:39]
	v_mul_f64 v[30:31], v[30:31], v[36:37]
	v_fma_f64 v[40:41], v[32:33], v[34:35], v[30:31]
	global_load_dwordx4 v[34:37], v[42:43], off offset:1088
	ds_read_b128 v[30:33], v190 offset:9280
	ds_write_b128 v190, v[38:41] offset:7600
	s_waitcnt vmcnt(0) lgkmcnt(1)
	v_mul_f64 v[38:39], v[32:33], v[36:37]
	v_fma_f64 v[38:39], v[30:31], v[34:35], -v[38:39]
	v_mul_f64 v[30:31], v[30:31], v[36:37]
	v_fma_f64 v[40:41], v[32:33], v[34:35], v[30:31]
	global_load_dwordx4 v[34:37], v[42:43], off offset:2768
	ds_read_b128 v[30:33], v190 offset:10960
	v_add_co_u32_e64 v42, s[2:3], s2, v28
	v_addc_co_u32_e64 v43, s[2:3], 0, v29, s[2:3]
	v_add_co_u32_e64 v28, s[2:3], s12, v28
	ds_write_b128 v190, v[38:41] offset:9280
	v_addc_co_u32_e64 v29, s[2:3], 0, v29, s[2:3]
	s_waitcnt vmcnt(0) lgkmcnt(1)
	v_mul_f64 v[38:39], v[32:33], v[36:37]
	v_fma_f64 v[38:39], v[30:31], v[34:35], -v[38:39]
	v_mul_f64 v[30:31], v[30:31], v[36:37]
	v_fma_f64 v[40:41], v[32:33], v[34:35], v[30:31]
	global_load_dwordx4 v[34:37], v[42:43], off offset:352
	ds_read_b128 v[30:33], v190 offset:12640
	ds_write_b128 v190, v[38:41] offset:10960
	s_waitcnt vmcnt(0) lgkmcnt(1)
	v_mul_f64 v[38:39], v[32:33], v[36:37]
	v_fma_f64 v[38:39], v[30:31], v[34:35], -v[38:39]
	v_mul_f64 v[30:31], v[30:31], v[36:37]
	v_fma_f64 v[40:41], v[32:33], v[34:35], v[30:31]
	global_load_dwordx4 v[34:37], v[42:43], off offset:2032
	ds_read_b128 v[30:33], v190 offset:14320
	ds_write_b128 v190, v[38:41] offset:12640
	;; [unrolled: 8-line block ×4, first 2 shown]
	s_waitcnt vmcnt(0) lgkmcnt(1)
	v_mul_f64 v[28:29], v[32:33], v[36:37]
	v_fma_f64 v[28:29], v[30:31], v[34:35], -v[28:29]
	v_mul_f64 v[30:31], v[30:31], v[36:37]
	v_fma_f64 v[30:31], v[32:33], v[34:35], v[30:31]
	ds_write_b128 v190, v[28:31] offset:17680
.LBB0_13:
	s_or_b64 exec, exec, s[4:5]
	s_waitcnt lgkmcnt(0)
	; wave barrier
	s_waitcnt lgkmcnt(0)
	ds_read_b128 v[52:55], v190
	ds_read_b128 v[56:59], v190 offset:1680
	ds_read_b128 v[44:47], v190 offset:3360
	;; [unrolled: 1-line block ×10, first 2 shown]
	s_and_saveexec_b64 s[2:3], vcc
	s_cbranch_execz .LBB0_15
; %bb.14:
	ds_read_b128 v[244:247], v190 offset:880
	ds_read_b128 v[248:251], v190 offset:2560
	;; [unrolled: 1-line block ×11, first 2 shown]
.LBB0_15:
	s_or_b64 exec, exec, s[2:3]
	s_waitcnt lgkmcnt(9)
	v_add_f64 v[36:37], v[52:53], v[56:57]
	v_add_f64 v[38:39], v[54:55], v[58:59]
	s_waitcnt lgkmcnt(0)
	v_add_f64 v[66:67], v[58:59], v[62:63]
	v_add_f64 v[58:59], v[58:59], -v[62:63]
	s_mov_b32 s14, 0xf8bb580b
	s_mov_b32 s36, 0x8eee2c13
	s_mov_b32 s18, 0x43842ef
	s_mov_b32 s24, 0xbb3a28a1
	v_add_f64 v[36:37], v[36:37], v[44:45]
	v_add_f64 v[38:39], v[38:39], v[46:47]
	s_mov_b32 s15, 0xbfe14ced
	s_mov_b32 s37, 0xbfed1bb4
	;; [unrolled: 1-line block ×4, first 2 shown]
	v_add_f64 v[64:65], v[56:57], v[60:61]
	v_add_f64 v[56:57], v[56:57], -v[60:61]
	v_add_f64 v[36:37], v[36:37], v[128:129]
	v_add_f64 v[38:39], v[38:39], v[130:131]
	v_mul_f64 v[72:73], v[58:59], s[36:37]
	v_mul_f64 v[80:81], v[58:59], s[18:19]
	;; [unrolled: 1-line block ×3, first 2 shown]
	s_mov_b32 s2, 0x8764f0ba
	s_mov_b32 s4, 0xd9c712b6
	;; [unrolled: 1-line block ×3, first 2 shown]
	v_add_f64 v[36:37], v[36:37], v[40:41]
	v_add_f64 v[38:39], v[38:39], v[42:43]
	s_mov_b32 s16, 0x7f775887
	s_mov_b32 s22, 0x9bcd5057
	;; [unrolled: 1-line block ×6, first 2 shown]
	v_add_f64 v[36:37], v[36:37], v[28:29]
	v_add_f64 v[38:39], v[38:39], v[30:31]
	s_mov_b32 s23, 0xbfeeb42a
	v_mul_f64 v[68:69], v[66:67], s[2:3]
	v_fma_f64 v[74:75], v[64:65], s[4:5], v[72:73]
	v_mul_f64 v[76:77], v[66:67], s[4:5]
	v_fma_f64 v[72:73], v[64:65], s[4:5], -v[72:73]
	v_fma_f64 v[82:83], v[64:65], s[12:13], v[80:81]
	v_add_f64 v[36:37], v[36:37], v[32:33]
	v_add_f64 v[38:39], v[38:39], v[34:35]
	v_mul_f64 v[84:85], v[66:67], s[12:13]
	v_fma_f64 v[80:81], v[64:65], s[12:13], -v[80:81]
	v_fma_f64 v[92:93], v[64:65], s[16:17], v[90:91]
	v_mul_f64 v[94:95], v[66:67], s[16:17]
	v_fma_f64 v[90:91], v[64:65], s[16:17], -v[90:91]
	v_mul_f64 v[66:67], v[66:67], s[22:23]
	v_add_f64 v[36:37], v[36:37], v[124:125]
	v_add_f64 v[38:39], v[38:39], v[126:127]
	s_mov_b32 s31, 0x3fe14ced
	s_mov_b32 s30, s14
	;; [unrolled: 1-line block ×6, first 2 shown]
	v_add_f64 v[36:37], v[36:37], v[132:133]
	v_add_f64 v[38:39], v[38:39], v[134:135]
	s_mov_b32 s39, 0x3fe82f19
	s_mov_b32 s38, s24
	s_mov_b32 s27, 0x3fd207e7
	s_mov_b32 s26, s34
	v_fma_f64 v[70:71], v[56:57], s[30:31], v[68:69]
	v_fma_f64 v[68:69], v[56:57], s[14:15], v[68:69]
	v_add_f64 v[36:37], v[36:37], v[48:49]
	v_add_f64 v[38:39], v[38:39], v[50:51]
	;; [unrolled: 1-line block ×3, first 2 shown]
	v_fma_f64 v[78:79], v[56:57], s[20:21], v[76:77]
	v_add_f64 v[72:73], v[52:53], v[72:73]
	v_fma_f64 v[76:77], v[56:57], s[36:37], v[76:77]
	v_add_f64 v[82:83], v[52:53], v[82:83]
	;; [unrolled: 2-line block ×3, first 2 shown]
	v_mul_f64 v[60:61], v[58:59], s[14:15]
	v_mul_f64 v[58:59], v[58:59], s[34:35]
	v_add_f64 v[38:39], v[38:39], v[62:63]
	v_add_f64 v[80:81], v[52:53], v[80:81]
	v_fma_f64 v[84:85], v[56:57], s[18:19], v[84:85]
	v_add_f64 v[92:93], v[52:53], v[92:93]
	v_fma_f64 v[96:97], v[56:57], s[38:39], v[94:95]
	;; [unrolled: 2-line block ×3, first 2 shown]
	v_fma_f64 v[60:61], v[64:65], s[2:3], -v[60:61]
	v_fma_f64 v[98:99], v[64:65], s[22:23], v[58:59]
	v_fma_f64 v[58:59], v[64:65], s[22:23], -v[58:59]
	v_fma_f64 v[94:95], v[56:57], s[24:25], v[94:95]
	v_fma_f64 v[100:101], v[56:57], s[26:27], v[66:67]
	;; [unrolled: 1-line block ×3, first 2 shown]
	v_add_f64 v[70:71], v[54:55], v[70:71]
	v_add_f64 v[62:63], v[52:53], v[62:63]
	;; [unrolled: 1-line block ×6, first 2 shown]
	v_add_f64 v[46:47], v[46:47], -v[50:51]
	v_add_f64 v[68:69], v[54:55], v[68:69]
	v_add_f64 v[78:79], v[54:55], v[78:79]
	;; [unrolled: 1-line block ×10, first 2 shown]
	v_add_f64 v[44:45], v[44:45], -v[48:49]
	v_mul_f64 v[48:49], v[46:47], s[36:37]
	v_add_f64 v[102:103], v[2:3], -v[22:23]
	v_add_f64 v[112:113], v[0:1], -v[20:21]
	;; [unrolled: 1-line block ×5, first 2 shown]
	v_add_f64 v[106:107], v[6:7], v[18:19]
	v_add_f64 v[156:157], v[4:5], -v[16:17]
	v_fma_f64 v[50:51], v[56:57], s[4:5], v[48:49]
	v_fma_f64 v[48:49], v[56:57], s[4:5], -v[48:49]
	v_add_f64 v[158:159], v[14:15], -v[10:11]
	v_add_f64 v[110:111], v[12:13], v[8:9]
	v_add_f64 v[118:119], v[14:15], v[10:11]
	v_add_f64 v[164:165], v[12:13], -v[8:9]
	v_mul_f64 v[104:105], v[106:107], s[12:13]
	v_add_f64 v[50:51], v[50:51], v[62:63]
	v_mul_f64 v[62:63], v[58:59], s[4:5]
	v_add_f64 v[48:49], v[48:49], v[60:61]
	v_mul_f64 v[108:109], v[158:159], s[30:31]
	v_mul_f64 v[116:117], v[118:119], s[2:3]
	; wave barrier
	v_fma_f64 v[64:65], v[44:45], s[20:21], v[62:63]
	v_fma_f64 v[60:61], v[44:45], s[36:37], v[62:63]
	v_mul_f64 v[62:63], v[46:47], s[24:25]
	v_add_f64 v[64:65], v[64:65], v[70:71]
	v_add_f64 v[60:61], v[60:61], v[68:69]
	v_fma_f64 v[66:67], v[56:57], s[16:17], v[62:63]
	v_mul_f64 v[68:69], v[58:59], s[16:17]
	v_fma_f64 v[62:63], v[56:57], s[16:17], -v[62:63]
	v_add_f64 v[66:67], v[66:67], v[74:75]
	v_fma_f64 v[70:71], v[44:45], s[38:39], v[68:69]
	v_add_f64 v[62:63], v[62:63], v[72:73]
	v_fma_f64 v[68:69], v[44:45], s[24:25], v[68:69]
	v_mul_f64 v[72:73], v[46:47], s[26:27]
	v_add_f64 v[70:71], v[70:71], v[78:79]
	v_add_f64 v[68:69], v[68:69], v[76:77]
	v_fma_f64 v[74:75], v[56:57], s[22:23], v[72:73]
	v_mul_f64 v[76:77], v[58:59], s[22:23]
	v_fma_f64 v[72:73], v[56:57], s[22:23], -v[72:73]
	v_add_f64 v[74:75], v[74:75], v[82:83]
	v_fma_f64 v[78:79], v[44:45], s[34:35], v[76:77]
	v_add_f64 v[72:73], v[72:73], v[80:81]
	v_fma_f64 v[76:77], v[44:45], s[26:27], v[76:77]
	v_mul_f64 v[80:81], v[46:47], s[28:29]
	v_mul_f64 v[46:47], v[46:47], s[30:31]
	v_add_f64 v[78:79], v[78:79], v[86:87]
	v_add_f64 v[76:77], v[76:77], v[84:85]
	v_fma_f64 v[82:83], v[56:57], s[12:13], v[80:81]
	v_mul_f64 v[84:85], v[58:59], s[12:13]
	v_fma_f64 v[80:81], v[56:57], s[12:13], -v[80:81]
	v_mul_f64 v[58:59], v[58:59], s[2:3]
	v_add_f64 v[82:83], v[82:83], v[92:93]
	v_fma_f64 v[86:87], v[44:45], s[18:19], v[84:85]
	v_add_f64 v[80:81], v[80:81], v[90:91]
	v_fma_f64 v[84:85], v[44:45], s[28:29], v[84:85]
	v_fma_f64 v[90:91], v[56:57], s[2:3], v[46:47]
	;; [unrolled: 1-line block ×3, first 2 shown]
	v_fma_f64 v[46:47], v[56:57], s[2:3], -v[46:47]
	v_fma_f64 v[44:45], v[44:45], s[30:31], v[58:59]
	v_add_f64 v[58:59], v[130:131], -v[134:135]
	v_add_f64 v[86:87], v[86:87], v[96:97]
	v_add_f64 v[56:57], v[128:129], -v[132:133]
	v_add_f64 v[84:85], v[84:85], v[94:95]
	v_add_f64 v[90:91], v[90:91], v[98:99]
	;; [unrolled: 1-line block ×5, first 2 shown]
	v_mul_f64 v[94:95], v[58:59], s[18:19]
	v_add_f64 v[44:45], v[44:45], v[54:55]
	v_add_f64 v[54:55], v[130:131], v[134:135]
	;; [unrolled: 1-line block ×3, first 2 shown]
	v_mul_f64 v[132:133], v[102:103], s[36:37]
	v_mul_f64 v[100:101], v[118:119], s[22:23]
	v_fma_f64 v[96:97], v[52:53], s[12:13], v[94:95]
	v_fma_f64 v[94:95], v[52:53], s[12:13], -v[94:95]
	v_mul_f64 v[128:129], v[130:131], s[4:5]
	v_add_f64 v[50:51], v[96:97], v[50:51]
	v_mul_f64 v[96:97], v[54:55], s[12:13]
	v_add_f64 v[48:49], v[94:95], v[48:49]
	v_fma_f64 v[94:95], v[56:57], s[18:19], v[96:97]
	v_fma_f64 v[98:99], v[56:57], s[28:29], v[96:97]
	v_add_f64 v[60:61], v[94:95], v[60:61]
	v_mul_f64 v[94:95], v[58:59], s[26:27]
	v_add_f64 v[64:65], v[98:99], v[64:65]
	v_fma_f64 v[96:97], v[52:53], s[22:23], v[94:95]
	v_fma_f64 v[94:95], v[52:53], s[22:23], -v[94:95]
	v_add_f64 v[66:67], v[96:97], v[66:67]
	v_mul_f64 v[96:97], v[54:55], s[22:23]
	v_add_f64 v[62:63], v[94:95], v[62:63]
	v_fma_f64 v[94:95], v[56:57], s[26:27], v[96:97]
	v_fma_f64 v[98:99], v[56:57], s[34:35], v[96:97]
	v_add_f64 v[68:69], v[94:95], v[68:69]
	v_mul_f64 v[94:95], v[58:59], s[20:21]
	v_add_f64 v[70:71], v[98:99], v[70:71]
	v_fma_f64 v[96:97], v[52:53], s[4:5], v[94:95]
	v_fma_f64 v[94:95], v[52:53], s[4:5], -v[94:95]
	v_add_f64 v[74:75], v[96:97], v[74:75]
	v_mul_f64 v[96:97], v[54:55], s[4:5]
	v_add_f64 v[72:73], v[94:95], v[72:73]
	v_fma_f64 v[94:95], v[56:57], s[20:21], v[96:97]
	v_fma_f64 v[98:99], v[56:57], s[36:37], v[96:97]
	v_add_f64 v[76:77], v[94:95], v[76:77]
	v_mul_f64 v[94:95], v[58:59], s[14:15]
	v_mul_f64 v[58:59], v[58:59], s[24:25]
	v_add_f64 v[78:79], v[98:99], v[78:79]
	v_fma_f64 v[96:97], v[52:53], s[2:3], v[94:95]
	v_fma_f64 v[94:95], v[52:53], s[2:3], -v[94:95]
	v_add_f64 v[82:83], v[96:97], v[82:83]
	v_mul_f64 v[96:97], v[54:55], s[2:3]
	v_add_f64 v[80:81], v[94:95], v[80:81]
	v_mul_f64 v[54:55], v[54:55], s[16:17]
	v_fma_f64 v[94:95], v[56:57], s[14:15], v[96:97]
	v_fma_f64 v[98:99], v[56:57], s[30:31], v[96:97]
	v_add_f64 v[96:97], v[30:31], v[34:35]
	v_add_f64 v[30:31], v[30:31], -v[34:35]
	v_add_f64 v[84:85], v[94:95], v[84:85]
	v_fma_f64 v[94:95], v[52:53], s[16:17], v[58:59]
	v_fma_f64 v[52:53], v[52:53], s[16:17], -v[58:59]
	v_add_f64 v[86:87], v[98:99], v[86:87]
	v_add_f64 v[90:91], v[94:95], v[90:91]
	v_fma_f64 v[94:95], v[56:57], s[38:39], v[54:55]
	v_add_f64 v[46:47], v[52:53], v[46:47]
	v_fma_f64 v[52:53], v[56:57], s[24:25], v[54:55]
	v_add_f64 v[54:55], v[42:43], v[126:127]
	v_add_f64 v[42:43], v[42:43], -v[126:127]
	v_add_f64 v[92:93], v[94:95], v[92:93]
	v_add_f64 v[44:45], v[52:53], v[44:45]
	;; [unrolled: 1-line block ×3, first 2 shown]
	v_mul_f64 v[56:57], v[42:43], s[24:25]
	v_add_f64 v[40:41], v[40:41], -v[124:125]
	v_fma_f64 v[58:59], v[52:53], s[16:17], v[56:57]
	v_fma_f64 v[56:57], v[52:53], s[16:17], -v[56:57]
	v_add_f64 v[50:51], v[58:59], v[50:51]
	v_mul_f64 v[58:59], v[54:55], s[16:17]
	v_add_f64 v[48:49], v[56:57], v[48:49]
	v_fma_f64 v[94:95], v[40:41], s[38:39], v[58:59]
	v_fma_f64 v[56:57], v[40:41], s[24:25], v[58:59]
	v_mul_f64 v[58:59], v[42:43], s[28:29]
	v_add_f64 v[64:65], v[94:95], v[64:65]
	v_add_f64 v[56:57], v[56:57], v[60:61]
	v_fma_f64 v[60:61], v[52:53], s[12:13], v[58:59]
	v_fma_f64 v[58:59], v[52:53], s[12:13], -v[58:59]
	v_add_f64 v[60:61], v[60:61], v[66:67]
	v_mul_f64 v[66:67], v[54:55], s[12:13]
	v_add_f64 v[58:59], v[58:59], v[62:63]
	v_fma_f64 v[94:95], v[40:41], s[18:19], v[66:67]
	v_fma_f64 v[62:63], v[40:41], s[28:29], v[66:67]
	v_mul_f64 v[66:67], v[42:43], s[14:15]
	v_add_f64 v[70:71], v[94:95], v[70:71]
	v_add_f64 v[62:63], v[62:63], v[68:69]
	v_fma_f64 v[68:69], v[52:53], s[2:3], v[66:67]
	v_fma_f64 v[66:67], v[52:53], s[2:3], -v[66:67]
	v_add_f64 v[68:69], v[68:69], v[74:75]
	v_mul_f64 v[74:75], v[54:55], s[2:3]
	v_add_f64 v[66:67], v[66:67], v[72:73]
	v_fma_f64 v[94:95], v[40:41], s[30:31], v[74:75]
	v_fma_f64 v[72:73], v[40:41], s[14:15], v[74:75]
	v_mul_f64 v[74:75], v[42:43], s[34:35]
	v_mul_f64 v[42:43], v[42:43], s[20:21]
	v_add_f64 v[78:79], v[94:95], v[78:79]
	v_add_f64 v[72:73], v[72:73], v[76:77]
	v_fma_f64 v[76:77], v[52:53], s[22:23], v[74:75]
	v_fma_f64 v[74:75], v[52:53], s[22:23], -v[74:75]
	v_add_f64 v[76:77], v[76:77], v[82:83]
	v_mul_f64 v[82:83], v[54:55], s[22:23]
	v_add_f64 v[74:75], v[74:75], v[80:81]
	v_mul_f64 v[54:55], v[54:55], s[4:5]
	v_fma_f64 v[94:95], v[40:41], s[26:27], v[82:83]
	v_fma_f64 v[80:81], v[40:41], s[34:35], v[82:83]
	;; [unrolled: 1-line block ×3, first 2 shown]
	v_fma_f64 v[42:43], v[52:53], s[4:5], -v[42:43]
	v_add_f64 v[86:87], v[94:95], v[86:87]
	v_add_f64 v[94:95], v[28:29], v[32:33]
	v_add_f64 v[28:29], v[28:29], -v[32:33]
	v_mul_f64 v[32:33], v[30:31], s[34:35]
	v_add_f64 v[80:81], v[80:81], v[84:85]
	v_fma_f64 v[84:85], v[40:41], s[36:37], v[54:55]
	v_fma_f64 v[40:41], v[40:41], s[20:21], v[54:55]
	v_add_f64 v[82:83], v[82:83], v[90:91]
	v_add_f64 v[90:91], v[42:43], v[46:47]
	v_fma_f64 v[34:35], v[94:95], s[22:23], v[32:33]
	v_fma_f64 v[32:33], v[94:95], s[22:23], -v[32:33]
	v_add_f64 v[84:85], v[84:85], v[92:93]
	v_add_f64 v[92:93], v[40:41], v[44:45]
	;; [unrolled: 1-line block ×3, first 2 shown]
	v_mul_f64 v[34:35], v[96:97], s[22:23]
	v_fma_f64 v[40:41], v[28:29], s[26:27], v[34:35]
	v_add_f64 v[46:47], v[40:41], v[64:65]
	v_add_f64 v[40:41], v[32:33], v[48:49]
	v_fma_f64 v[32:33], v[28:29], s[34:35], v[34:35]
	v_add_f64 v[42:43], v[32:33], v[56:57]
	v_mul_f64 v[32:33], v[30:31], s[30:31]
	v_fma_f64 v[34:35], v[94:95], s[2:3], v[32:33]
	v_fma_f64 v[32:33], v[94:95], s[2:3], -v[32:33]
	v_add_f64 v[52:53], v[34:35], v[60:61]
	v_mul_f64 v[34:35], v[96:97], s[2:3]
	v_add_f64 v[60:61], v[248:249], v[240:241]
	v_fma_f64 v[48:49], v[28:29], s[14:15], v[34:35]
	v_add_f64 v[54:55], v[48:49], v[70:71]
	v_add_f64 v[48:49], v[32:33], v[58:59]
	v_fma_f64 v[32:33], v[28:29], s[30:31], v[34:35]
	v_mul_f64 v[58:59], v[130:131], s[2:3]
	v_mul_f64 v[70:71], v[114:115], s[18:19]
	v_add_f64 v[50:51], v[32:33], v[62:63]
	v_mul_f64 v[32:33], v[30:31], s[24:25]
	v_fma_f64 v[34:35], v[94:95], s[16:17], v[32:33]
	v_fma_f64 v[32:33], v[94:95], s[16:17], -v[32:33]
	v_add_f64 v[124:125], v[34:35], v[68:69]
	v_mul_f64 v[34:35], v[96:97], s[16:17]
	v_add_f64 v[170:171], v[32:33], v[66:67]
	v_add_f64 v[68:69], v[0:1], v[20:21]
	v_fma_f64 v[32:33], v[28:29], s[24:25], v[34:35]
	v_fma_f64 v[56:57], v[28:29], s[38:39], v[34:35]
	v_fma_f64 v[64:65], v[68:69], s[4:5], -v[132:133]
	v_add_f64 v[172:173], v[32:33], v[72:73]
	v_mul_f64 v[32:33], v[30:31], s[20:21]
	v_mul_f64 v[30:31], v[30:31], s[18:19]
	v_add_f64 v[126:127], v[56:57], v[78:79]
	v_add_f64 v[72:73], v[2:3], v[22:23]
	;; [unrolled: 1-line block ×3, first 2 shown]
	v_fma_f64 v[34:35], v[94:95], s[4:5], v[32:33]
	v_fma_f64 v[32:33], v[94:95], s[4:5], -v[32:33]
	v_mul_f64 v[134:135], v[72:73], s[4:5]
	v_fma_f64 v[66:67], v[78:79], s[12:13], -v[70:71]
	v_add_f64 v[174:175], v[34:35], v[76:77]
	v_mul_f64 v[34:35], v[96:97], s[4:5]
	v_add_f64 v[178:179], v[32:33], v[74:75]
	v_mul_f64 v[76:77], v[72:73], s[16:17]
	v_fma_f64 v[32:33], v[28:29], s[20:21], v[34:35]
	v_fma_f64 v[56:57], v[28:29], s[36:37], v[34:35]
	v_add_f64 v[180:181], v[32:33], v[80:81]
	v_fma_f64 v[32:33], v[94:95], s[12:13], v[30:31]
	v_add_f64 v[80:81], v[250:251], -v[242:243]
	v_add_f64 v[176:177], v[56:57], v[86:87]
	v_fma_f64 v[30:31], v[94:95], s[12:13], -v[30:31]
	v_mul_f64 v[86:87], v[122:123], s[24:25]
	v_add_f64 v[182:183], v[32:33], v[82:83]
	v_mul_f64 v[32:33], v[96:97], s[12:13]
	v_mul_f64 v[56:57], v[80:81], s[14:15]
	v_add_f64 v[186:187], v[30:31], v[90:91]
	v_mul_f64 v[62:63], v[80:81], s[36:37]
	v_mul_f64 v[90:91], v[102:103], s[24:25]
	v_mul_f64 v[82:83], v[114:115], s[26:27]
	v_add_f64 v[96:97], v[4:5], v[16:17]
	v_fma_f64 v[34:35], v[28:29], s[28:29], v[32:33]
	v_fma_f64 v[28:29], v[28:29], s[18:19], v[32:33]
	v_fma_f64 v[32:33], v[60:61], s[4:5], -v[62:63]
	v_fma_f64 v[94:95], v[96:97], s[16:17], -v[86:87]
	v_add_f64 v[184:185], v[34:35], v[84:85]
	v_add_f64 v[188:189], v[28:29], v[92:93]
	v_add_f64 v[84:85], v[248:249], -v[240:241]
	v_fma_f64 v[28:29], v[60:61], s[2:3], -v[56:57]
	v_add_f64 v[32:33], v[244:245], v[32:33]
	ds_write_b128 v191, v[36:39]
	ds_write_b128 v191, v[44:47] offset:16
	ds_write_b128 v191, v[52:55] offset:32
	;; [unrolled: 1-line block ×10, first 2 shown]
	v_fma_f64 v[30:31], v[84:85], s[14:15], v[58:59]
	v_add_f64 v[28:29], v[244:245], v[28:29]
	v_fma_f64 v[34:35], v[84:85], s[36:37], v[128:129]
	v_add_f64 v[30:31], v[246:247], v[30:31]
	v_add_f64 v[28:29], v[64:65], v[28:29]
	v_fma_f64 v[64:65], v[112:113], s[36:37], v[134:135]
	v_add_f64 v[34:35], v[246:247], v[34:35]
	v_add_f64 v[28:29], v[66:67], v[28:29]
	;; [unrolled: 1-line block ×3, first 2 shown]
	v_fma_f64 v[64:65], v[68:69], s[16:17], -v[90:91]
	v_add_f64 v[28:29], v[94:95], v[28:29]
	v_add_f64 v[32:33], v[64:65], v[32:33]
	v_fma_f64 v[64:65], v[112:113], s[24:25], v[76:77]
	v_add_f64 v[34:35], v[64:65], v[34:35]
	v_add_f64 v[64:65], v[254:255], v[26:27]
	v_mul_f64 v[74:75], v[64:65], s[12:13]
	v_mul_f64 v[92:93], v[64:65], s[22:23]
	v_fma_f64 v[66:67], v[120:121], s[18:19], v[74:75]
	v_add_f64 v[30:31], v[66:67], v[30:31]
	v_fma_f64 v[66:67], v[78:79], s[22:23], -v[82:83]
	v_add_f64 v[32:33], v[66:67], v[32:33]
	v_fma_f64 v[66:67], v[120:121], s[26:27], v[92:93]
	v_add_f64 v[34:35], v[66:67], v[34:35]
	v_mul_f64 v[66:67], v[106:107], s[16:17]
	v_fma_f64 v[94:95], v[156:157], s[24:25], v[66:67]
	v_add_f64 v[30:31], v[94:95], v[30:31]
	v_mul_f64 v[94:95], v[122:123], s[28:29]
	v_fma_f64 v[98:99], v[96:97], s[12:13], -v[94:95]
	v_add_f64 v[166:167], v[98:99], v[32:33]
	v_fma_f64 v[32:33], v[156:157], s[28:29], v[104:105]
	v_mul_f64 v[98:99], v[158:159], s[34:35]
	v_add_f64 v[168:169], v[32:33], v[34:35]
	v_fma_f64 v[32:33], v[110:111], s[22:23], -v[98:99]
	v_add_f64 v[32:33], v[32:33], v[28:29]
	v_fma_f64 v[28:29], v[164:165], s[34:35], v[100:101]
	v_add_f64 v[34:35], v[28:29], v[30:31]
	v_fma_f64 v[28:29], v[110:111], s[2:3], -v[108:109]
	v_fma_f64 v[30:31], v[164:165], s[30:31], v[116:117]
	v_add_f64 v[28:29], v[28:29], v[166:167]
	v_add_f64 v[30:31], v[30:31], v[168:169]
	s_and_saveexec_b64 s[38:39], vcc
	s_cbranch_execz .LBB0_17
; %bb.16:
	v_mul_f64 v[36:37], v[84:85], s[14:15]
	v_mul_f64 v[124:125], v[84:85], s[34:35]
	;; [unrolled: 1-line block ×8, first 2 shown]
	buffer_store_dword v36, off, s[48:51], 0 offset:720 ; 4-byte Folded Spill
	s_nop 0
	buffer_store_dword v37, off, s[48:51], 0 offset:724 ; 4-byte Folded Spill
	v_mul_f64 v[36:37], v[60:61], s[4:5]
	v_fma_f64 v[126:127], v[130:131], s[22:23], v[124:125]
	v_fma_f64 v[124:125], v[130:131], s[22:23], -v[124:125]
	v_fma_f64 v[50:51], v[72:73], s[2:3], v[48:49]
	v_fma_f64 v[48:49], v[72:73], s[2:3], -v[48:49]
	;; [unrolled: 2-line block ×3, first 2 shown]
	v_fma_f64 v[44:45], v[64:65], s[16:17], -v[44:45]
	buffer_store_dword v36, off, s[48:51], 0 offset:760 ; 4-byte Folded Spill
	s_nop 0
	buffer_store_dword v37, off, s[48:51], 0 offset:764 ; 4-byte Folded Spill
	v_mul_f64 v[36:37], v[84:85], s[36:37]
	v_add_f64 v[126:127], v[246:247], v[126:127]
	v_add_f64 v[124:125], v[246:247], v[124:125]
	v_fma_f64 v[38:39], v[106:107], s[4:5], v[42:43]
	v_fma_f64 v[172:173], v[68:69], s[2:3], -v[170:171]
	v_add_f64 v[176:177], v[244:245], v[176:177]
	v_fma_f64 v[42:43], v[106:107], s[4:5], -v[42:43]
	v_mul_f64 v[40:41], v[164:165], s[18:19]
	buffer_store_dword v36, off, s[48:51], 0 offset:800 ; 4-byte Folded Spill
	s_nop 0
	buffer_store_dword v37, off, s[48:51], 0 offset:804 ; 4-byte Folded Spill
	v_mul_f64 v[36:37], v[112:113], s[36:37]
	v_add_f64 v[50:51], v[50:51], v[126:127]
	v_add_f64 v[48:49], v[48:49], v[124:125]
	v_fma_f64 v[168:169], v[78:79], s[16:17], -v[166:167]
	v_add_f64 v[172:173], v[172:173], v[176:177]
	v_mul_f64 v[182:183], v[80:81], s[24:25]
	v_mul_f64 v[178:179], v[102:103], s[28:29]
	;; [unrolled: 1-line block ×3, first 2 shown]
	buffer_store_dword v36, off, s[48:51], 0 offset:736 ; 4-byte Folded Spill
	s_nop 0
	buffer_store_dword v37, off, s[48:51], 0 offset:740 ; 4-byte Folded Spill
	v_mul_f64 v[36:37], v[68:69], s[16:17]
	v_add_f64 v[46:47], v[46:47], v[50:51]
	v_mul_f64 v[50:51], v[122:123], s[20:21]
	v_add_f64 v[44:45], v[44:45], v[48:49]
	v_add_f64 v[168:169], v[168:169], v[172:173]
	v_fma_f64 v[48:49], v[68:69], s[2:3], v[170:171]
	v_mul_f64 v[170:171], v[84:85], s[24:25]
	v_fma_f64 v[184:185], v[60:61], s[16:17], -v[182:183]
	buffer_store_dword v36, off, s[48:51], 0 offset:776 ; 4-byte Folded Spill
	s_nop 0
	buffer_store_dword v37, off, s[48:51], 0 offset:780 ; 4-byte Folded Spill
	v_mul_f64 v[36:37], v[112:113], s[24:25]
	v_fma_f64 v[126:127], v[96:97], s[4:5], -v[50:51]
	v_add_f64 v[42:43], v[42:43], v[44:45]
	v_fma_f64 v[44:45], v[96:97], s[4:5], v[50:51]
	v_fma_f64 v[50:51], v[60:61], s[22:23], v[174:175]
	v_add_f64 v[38:39], v[38:39], v[46:47]
	v_mul_f64 v[46:47], v[158:159], s[18:19]
	v_fma_f64 v[172:173], v[130:131], s[16:17], v[170:171]
	buffer_store_dword v36, off, s[48:51], 0 offset:824 ; 4-byte Folded Spill
	s_nop 0
	buffer_store_dword v37, off, s[48:51], 0 offset:828 ; 4-byte Folded Spill
	v_mul_f64 v[36:37], v[78:79], s[12:13]
	v_add_f64 v[126:127], v[126:127], v[168:169]
	v_mul_f64 v[168:169], v[112:113], s[28:29]
	v_add_f64 v[50:51], v[244:245], v[50:51]
	v_mul_f64 v[174:175], v[114:115], s[14:15]
	v_fma_f64 v[180:181], v[68:69], s[12:13], -v[178:179]
	v_add_f64 v[172:173], v[246:247], v[172:173]
	v_add_f64 v[184:185], v[244:245], v[184:185]
	buffer_store_dword v36, off, s[48:51], 0 offset:712 ; 4-byte Folded Spill
	s_nop 0
	buffer_store_dword v37, off, s[48:51], 0 offset:716 ; 4-byte Folded Spill
	v_mul_f64 v[36:37], v[120:121], s[18:19]
	v_mul_f64 v[84:85], v[84:85], s[18:19]
	v_add_f64 v[48:49], v[48:49], v[50:51]
	v_fma_f64 v[176:177], v[78:79], s[2:3], -v[174:175]
	v_mul_f64 v[112:113], v[112:113], s[26:27]
	v_mul_f64 v[54:55], v[156:157], s[28:29]
	v_add_f64 v[180:181], v[180:181], v[184:185]
	v_mul_f64 v[114:115], v[114:115], s[20:21]
	buffer_store_dword v36, off, s[48:51], 0 offset:752 ; 4-byte Folded Spill
	s_nop 0
	buffer_store_dword v37, off, s[48:51], 0 offset:756 ; 4-byte Folded Spill
	v_mul_f64 v[36:37], v[78:79], s[22:23]
	v_mul_f64 v[186:187], v[60:61], s[2:3]
	;; [unrolled: 1-line block ×4, first 2 shown]
	v_add_f64 v[54:55], v[104:105], -v[54:55]
	v_add_f64 v[176:177], v[176:177], v[180:181]
	buffer_store_dword v36, off, s[48:51], 0 offset:792 ; 4-byte Folded Spill
	s_nop 0
	buffer_store_dword v37, off, s[48:51], 0 offset:796 ; 4-byte Folded Spill
	v_mul_f64 v[36:37], v[120:121], s[26:27]
	v_add_f64 v[52:53], v[116:117], -v[52:53]
	v_add_f64 v[56:57], v[186:187], v[56:57]
	buffer_store_dword v36, off, s[48:51], 0 offset:832 ; 4-byte Folded Spill
	s_nop 0
	buffer_store_dword v37, off, s[48:51], 0 offset:836 ; 4-byte Folded Spill
	v_mul_f64 v[36:37], v[96:97], s[16:17]
	v_add_f64 v[56:57], v[244:245], v[56:57]
	buffer_store_dword v36, off, s[48:51], 0 offset:728 ; 4-byte Folded Spill
	s_nop 0
	buffer_store_dword v37, off, s[48:51], 0 offset:732 ; 4-byte Folded Spill
	v_mul_f64 v[36:37], v[156:157], s[24:25]
	buffer_store_dword v36, off, s[48:51], 0 offset:768 ; 4-byte Folded Spill
	s_nop 0
	buffer_store_dword v37, off, s[48:51], 0 offset:772 ; 4-byte Folded Spill
	v_mul_f64 v[36:37], v[96:97], s[12:13]
	;; [unrolled: 4-line block ×5, first 2 shown]
	buffer_store_dword v36, off, s[48:51], 0 offset:816 ; 4-byte Folded Spill
	s_nop 0
	buffer_store_dword v37, off, s[48:51], 0 offset:820 ; 4-byte Folded Spill
	v_fma_f64 v[36:37], v[118:119], s[12:13], v[40:41]
	v_fma_f64 v[40:41], v[118:119], s[12:13], -v[40:41]
	v_add_f64 v[38:39], v[36:37], v[38:39]
	v_fma_f64 v[36:37], v[110:111], s[12:13], -v[46:47]
	v_add_f64 v[42:43], v[40:41], v[42:43]
	v_fma_f64 v[40:41], v[110:111], s[12:13], v[46:47]
	v_fma_f64 v[46:47], v[78:79], s[16:17], v[166:167]
	v_mul_f64 v[166:167], v[120:121], s[14:15]
	v_mul_f64 v[120:121], v[120:121], s[20:21]
	v_add_f64 v[36:37], v[36:37], v[126:127]
	v_fma_f64 v[126:127], v[72:73], s[12:13], v[168:169]
	v_add_f64 v[46:47], v[46:47], v[48:49]
	v_mul_f64 v[48:49], v[156:157], s[34:35]
	v_fma_f64 v[124:125], v[64:65], s[2:3], v[166:167]
	v_mul_f64 v[156:157], v[156:157], s[14:15]
	v_add_f64 v[126:127], v[126:127], v[172:173]
	v_mul_f64 v[172:173], v[122:123], s[34:35]
	v_add_f64 v[44:45], v[44:45], v[46:47]
	v_fma_f64 v[50:51], v[106:107], s[22:23], v[48:49]
	v_mul_f64 v[122:123], v[122:123], s[14:15]
	v_add_f64 v[124:125], v[124:125], v[126:127]
	v_add_f64 v[40:41], v[40:41], v[44:45]
	v_mul_f64 v[44:45], v[164:165], s[20:21]
	v_mul_f64 v[164:165], v[164:165], s[24:25]
	v_add_f64 v[50:51], v[50:51], v[124:125]
	v_fma_f64 v[124:125], v[96:97], s[22:23], -v[172:173]
	v_fma_f64 v[46:47], v[118:119], s[4:5], v[44:45]
	v_fma_f64 v[44:45], v[118:119], s[4:5], -v[44:45]
	v_add_f64 v[124:125], v[124:125], v[176:177]
	v_add_f64 v[126:127], v[46:47], v[50:51]
	v_mul_f64 v[50:51], v[158:159], s[20:21]
	v_mul_f64 v[158:159], v[158:159], s[24:25]
	v_fma_f64 v[46:47], v[110:111], s[4:5], -v[50:51]
	v_add_f64 v[124:125], v[46:47], v[124:125]
	v_fma_f64 v[46:47], v[106:107], s[22:23], -v[48:49]
	v_fma_f64 v[48:49], v[64:65], s[2:3], -v[166:167]
	v_fma_f64 v[166:167], v[72:73], s[12:13], -v[168:169]
	v_fma_f64 v[168:169], v[130:131], s[16:17], -v[170:171]
	v_fma_f64 v[170:171], v[130:131], s[12:13], v[84:85]
	v_fma_f64 v[84:85], v[130:131], s[12:13], -v[84:85]
	v_add_f64 v[168:169], v[246:247], v[168:169]
	v_add_f64 v[170:171], v[246:247], v[170:171]
	;; [unrolled: 1-line block ×4, first 2 shown]
	v_fma_f64 v[168:169], v[60:61], s[16:17], v[182:183]
	v_add_f64 v[48:49], v[48:49], v[166:167]
	v_fma_f64 v[166:167], v[68:69], s[12:13], v[178:179]
	v_add_f64 v[168:169], v[244:245], v[168:169]
	v_add_f64 v[46:47], v[46:47], v[48:49]
	v_fma_f64 v[48:49], v[96:97], s[22:23], v[172:173]
	v_mul_f64 v[172:173], v[80:81], s[18:19]
	v_add_f64 v[166:167], v[166:167], v[168:169]
	v_fma_f64 v[168:169], v[72:73], s[22:23], v[112:113]
	v_fma_f64 v[72:73], v[72:73], s[22:23], -v[112:113]
	v_add_f64 v[46:47], v[44:45], v[46:47]
	v_fma_f64 v[44:45], v[110:111], s[4:5], v[50:51]
	v_fma_f64 v[50:51], v[78:79], s[2:3], v[174:175]
	v_fma_f64 v[80:81], v[60:61], s[12:13], -v[172:173]
	v_add_f64 v[168:169], v[168:169], v[170:171]
	v_fma_f64 v[170:171], v[68:69], s[22:23], -v[102:103]
	v_fma_f64 v[60:61], v[60:61], s[12:13], v[172:173]
	v_add_f64 v[72:73], v[72:73], v[84:85]
	v_fma_f64 v[68:69], v[68:69], s[22:23], v[102:103]
	v_add_f64 v[50:51], v[50:51], v[166:167]
	;; [unrolled: 2-line block ×3, first 2 shown]
	v_fma_f64 v[64:65], v[64:65], s[4:5], -v[120:121]
	v_add_f64 v[60:61], v[244:245], v[60:61]
	v_add_f64 v[48:49], v[48:49], v[50:51]
	v_fma_f64 v[50:51], v[106:107], s[2:3], v[156:157]
	v_add_f64 v[166:167], v[166:167], v[168:169]
	v_fma_f64 v[168:169], v[78:79], s[4:5], -v[114:115]
	v_add_f64 v[80:81], v[170:171], v[80:81]
	v_fma_f64 v[106:107], v[106:107], s[2:3], -v[156:157]
	v_add_f64 v[64:65], v[64:65], v[72:73]
	v_fma_f64 v[78:79], v[78:79], s[4:5], v[114:115]
	v_add_f64 v[44:45], v[44:45], v[48:49]
	v_fma_f64 v[48:49], v[118:119], s[16:17], v[164:165]
	v_add_f64 v[50:51], v[50:51], v[166:167]
	v_fma_f64 v[166:167], v[96:97], s[2:3], -v[122:123]
	v_add_f64 v[80:81], v[168:169], v[80:81]
	v_add_f64 v[60:61], v[68:69], v[60:61]
	;; [unrolled: 1-line block ×3, first 2 shown]
	v_fma_f64 v[72:73], v[96:97], s[2:3], v[122:123]
	v_add_f64 v[50:51], v[48:49], v[50:51]
	v_fma_f64 v[48:49], v[110:111], s[16:17], -v[158:159]
	v_add_f64 v[80:81], v[166:167], v[80:81]
	v_add_f64 v[60:61], v[78:79], v[60:61]
	;; [unrolled: 1-line block ×3, first 2 shown]
	v_fma_f64 v[80:81], v[118:119], s[16:17], -v[164:165]
	v_add_f64 v[60:61], v[72:73], v[60:61]
	v_add_f64 v[80:81], v[80:81], v[64:65]
	v_fma_f64 v[64:65], v[110:111], s[16:17], v[158:159]
	v_add_f64 v[78:79], v[64:65], v[60:61]
	buffer_load_dword v60, off, s[48:51], 0 offset:832 ; 4-byte Folded Reload
	buffer_load_dword v61, off, s[48:51], 0 offset:836 ; 4-byte Folded Reload
	;; [unrolled: 1-line block ×6, first 2 shown]
	s_waitcnt vmcnt(4)
	v_add_f64 v[60:61], v[92:93], -v[60:61]
	s_waitcnt vmcnt(2)
	v_add_f64 v[64:65], v[76:77], -v[64:65]
	s_waitcnt vmcnt(0)
	v_add_f64 v[68:69], v[128:129], -v[68:69]
	v_add_f64 v[68:69], v[246:247], v[68:69]
	v_add_f64 v[64:65], v[64:65], v[68:69]
	;; [unrolled: 1-line block ×5, first 2 shown]
	buffer_load_dword v52, off, s[48:51], 0 offset:816 ; 4-byte Folded Reload
	buffer_load_dword v53, off, s[48:51], 0 offset:820 ; 4-byte Folded Reload
	;; [unrolled: 1-line block ×10, first 2 shown]
	s_waitcnt vmcnt(8)
	v_add_f64 v[52:53], v[52:53], v[108:109]
	s_waitcnt vmcnt(6)
	v_add_f64 v[60:61], v[60:61], v[94:95]
	s_waitcnt vmcnt(4)
	v_add_f64 v[64:65], v[64:65], v[82:83]
	s_waitcnt vmcnt(2)
	v_add_f64 v[68:69], v[68:69], v[90:91]
	s_waitcnt vmcnt(0)
	v_add_f64 v[62:63], v[72:73], v[62:63]
	v_add_f64 v[62:63], v[244:245], v[62:63]
	v_add_f64 v[62:63], v[68:69], v[62:63]
	;; [unrolled: 1-line block ×5, first 2 shown]
	buffer_load_dword v60, off, s[48:51], 0 offset:784 ; 4-byte Folded Reload
	buffer_load_dword v61, off, s[48:51], 0 offset:788 ; 4-byte Folded Reload
	;; [unrolled: 1-line block ×6, first 2 shown]
	s_waitcnt vmcnt(4)
	v_add_f64 v[60:61], v[100:101], -v[60:61]
	s_waitcnt vmcnt(2)
	v_add_f64 v[62:63], v[66:67], -v[62:63]
	buffer_load_dword v66, off, s[48:51], 0 offset:736 ; 4-byte Folded Reload
	buffer_load_dword v67, off, s[48:51], 0 offset:740 ; 4-byte Folded Reload
	;; [unrolled: 1-line block ×4, first 2 shown]
	s_waitcnt vmcnt(4)
	v_add_f64 v[64:65], v[74:75], -v[64:65]
	s_waitcnt vmcnt(2)
	v_add_f64 v[66:67], v[134:135], -v[66:67]
	;; [unrolled: 2-line block ×3, first 2 shown]
	v_add_f64 v[58:59], v[246:247], v[58:59]
	v_add_f64 v[58:59], v[66:67], v[58:59]
	;; [unrolled: 1-line block ×7, first 2 shown]
	buffer_load_dword v60, off, s[48:51], 0 offset:744 ; 4-byte Folded Reload
	buffer_load_dword v61, off, s[48:51], 0 offset:748 ; 4-byte Folded Reload
	;; [unrolled: 1-line block ×6, first 2 shown]
	s_waitcnt vmcnt(4)
	v_add_f64 v[60:61], v[60:61], v[98:99]
	s_waitcnt vmcnt(2)
	v_add_f64 v[62:63], v[62:63], v[86:87]
	;; [unrolled: 2-line block ×3, first 2 shown]
	v_add_f64 v[56:57], v[64:65], v[56:57]
	v_add_f64 v[56:57], v[62:63], v[56:57]
	;; [unrolled: 1-line block ×14, first 2 shown]
	buffer_load_dword v4, off, s[48:51], 0 offset:644 ; 4-byte Folded Reload
	v_add_f64 v[2:3], v[2:3], v[26:27]
	v_add_f64 v[0:1], v[0:1], v[12:13]
	;; [unrolled: 1-line block ×9, first 2 shown]
	s_waitcnt vmcnt(0)
	v_lshlrev_b32_e32 v4, 4, v4
	ds_write_b128 v4, v[0:3]
	ds_write_b128 v4, v[56:59] offset:16
	ds_write_b128 v4, v[52:55] offset:32
	ds_write_b128 v4, v[78:81] offset:48
	ds_write_b128 v4, v[44:47] offset:64
	ds_write_b128 v4, v[40:43] offset:80
	ds_write_b128 v4, v[36:39] offset:96
	ds_write_b128 v4, v[124:127] offset:112
	ds_write_b128 v4, v[48:51] offset:128
	ds_write_b128 v4, v[28:31] offset:144
	ds_write_b128 v4, v[32:35] offset:160
.LBB0_17:
	s_or_b64 exec, exec, s[38:39]
	s_waitcnt lgkmcnt(0)
	; wave barrier
	s_waitcnt lgkmcnt(0)
	ds_read_b128 v[24:27], v190
	ds_read_b128 v[20:23], v190 offset:880
	ds_read_b128 v[248:251], v190 offset:3696
	;; [unrolled: 1-line block ×19, first 2 shown]
	s_and_saveexec_b64 s[2:3], s[0:1]
	s_cbranch_execz .LBB0_19
; %bb.18:
	ds_read_b128 v[28:31], v190 offset:3520
	ds_read_b128 v[32:35], v190 offset:7216
	;; [unrolled: 1-line block ×3, first 2 shown]
	s_waitcnt lgkmcnt(0)
	buffer_store_dword v64, off, s[48:51], 0 offset:16 ; 4-byte Folded Spill
	s_nop 0
	buffer_store_dword v65, off, s[48:51], 0 offset:20 ; 4-byte Folded Spill
	buffer_store_dword v66, off, s[48:51], 0 offset:24 ; 4-byte Folded Spill
	;; [unrolled: 1-line block ×3, first 2 shown]
	ds_read_b128 v[64:67], v190 offset:14608
	s_waitcnt lgkmcnt(0)
	buffer_store_dword v64, off, s[48:51], 0 offset:32 ; 4-byte Folded Spill
	s_nop 0
	buffer_store_dword v65, off, s[48:51], 0 offset:36 ; 4-byte Folded Spill
	buffer_store_dword v66, off, s[48:51], 0 offset:40 ; 4-byte Folded Spill
	;; [unrolled: 1-line block ×3, first 2 shown]
	ds_read_b128 v[64:67], v190 offset:18304
	s_waitcnt lgkmcnt(0)
	buffer_store_dword v64, off, s[48:51], 0 ; 4-byte Folded Spill
	s_nop 0
	buffer_store_dword v65, off, s[48:51], 0 offset:4 ; 4-byte Folded Spill
	buffer_store_dword v66, off, s[48:51], 0 offset:8 ; 4-byte Folded Spill
	;; [unrolled: 1-line block ×3, first 2 shown]
.LBB0_19:
	s_or_b64 exec, exec, s[2:3]
	buffer_load_dword v68, off, s[48:51], 0 offset:284 ; 4-byte Folded Reload
	buffer_load_dword v69, off, s[48:51], 0 offset:288 ; 4-byte Folded Reload
	;; [unrolled: 1-line block ×4, first 2 shown]
	s_mov_b32 s4, 0x134454ff
	s_mov_b32 s5, 0xbfee6f0e
	s_mov_b32 s17, 0x3fee6f0e
	s_mov_b32 s16, s4
	s_mov_b32 s12, 0x4755a5e
	s_mov_b32 s13, 0xbfe2cf23
	s_mov_b32 s15, 0x3fe2cf23
	s_mov_b32 s14, s12
	s_mov_b32 s2, 0x372fe950
	s_mov_b32 s3, 0x3fd3c6ef
	s_waitcnt vmcnt(0) lgkmcnt(14)
	v_mul_f64 v[64:65], v[70:71], v[250:251]
	v_mul_f64 v[66:67], v[70:71], v[248:249]
	buffer_load_dword v70, off, s[48:51], 0 offset:268 ; 4-byte Folded Reload
	buffer_load_dword v71, off, s[48:51], 0 offset:272 ; 4-byte Folded Reload
	;; [unrolled: 1-line block ×4, first 2 shown]
	v_fma_f64 v[64:65], v[68:69], v[248:249], v[64:65]
	v_fma_f64 v[68:69], v[68:69], v[250:251], -v[66:67]
	s_waitcnt vmcnt(0)
	v_mul_f64 v[66:67], v[72:73], v[246:247]
	v_fma_f64 v[108:109], v[70:71], v[244:245], v[66:67]
	v_mul_f64 v[66:67], v[72:73], v[244:245]
	v_fma_f64 v[110:111], v[70:71], v[246:247], -v[66:67]
	buffer_load_dword v70, off, s[48:51], 0 offset:252 ; 4-byte Folded Reload
	buffer_load_dword v71, off, s[48:51], 0 offset:256 ; 4-byte Folded Reload
	;; [unrolled: 1-line block ×4, first 2 shown]
	s_waitcnt vmcnt(0) lgkmcnt(13)
	v_mul_f64 v[66:67], v[72:73], v[242:243]
	v_fma_f64 v[112:113], v[70:71], v[240:241], v[66:67]
	v_mul_f64 v[66:67], v[72:73], v[240:241]
	v_fma_f64 v[114:115], v[70:71], v[242:243], -v[66:67]
	buffer_load_dword v70, off, s[48:51], 0 offset:236 ; 4-byte Folded Reload
	buffer_load_dword v71, off, s[48:51], 0 offset:240 ; 4-byte Folded Reload
	;; [unrolled: 1-line block ×4, first 2 shown]
	s_waitcnt vmcnt(0) lgkmcnt(11)
	v_mul_f64 v[66:67], v[72:73], v[134:135]
	v_fma_f64 v[116:117], v[70:71], v[132:133], v[66:67]
	v_mul_f64 v[66:67], v[72:73], v[132:133]
	buffer_load_dword v72, off, s[48:51], 0 offset:348 ; 4-byte Folded Reload
	buffer_load_dword v73, off, s[48:51], 0 offset:352 ; 4-byte Folded Reload
	;; [unrolled: 1-line block ×4, first 2 shown]
	v_fma_f64 v[118:119], v[70:71], v[134:135], -v[66:67]
	s_waitcnt vmcnt(0)
	v_mul_f64 v[66:67], v[74:75], v[130:131]
	v_mul_f64 v[70:71], v[74:75], v[128:129]
	buffer_load_dword v74, off, s[48:51], 0 offset:332 ; 4-byte Folded Reload
	buffer_load_dword v75, off, s[48:51], 0 offset:336 ; 4-byte Folded Reload
	;; [unrolled: 1-line block ×4, first 2 shown]
	v_fma_f64 v[66:67], v[72:73], v[128:129], v[66:67]
	v_fma_f64 v[70:71], v[72:73], v[130:131], -v[70:71]
	s_waitcnt vmcnt(0)
	v_mul_f64 v[72:73], v[76:77], v[126:127]
	v_fma_f64 v[104:105], v[74:75], v[124:125], v[72:73]
	v_mul_f64 v[72:73], v[76:77], v[124:125]
	v_fma_f64 v[98:99], v[74:75], v[126:127], -v[72:73]
	buffer_load_dword v74, off, s[48:51], 0 offset:316 ; 4-byte Folded Reload
	buffer_load_dword v75, off, s[48:51], 0 offset:320 ; 4-byte Folded Reload
	;; [unrolled: 1-line block ×4, first 2 shown]
	s_waitcnt vmcnt(0)
	v_mul_f64 v[72:73], v[76:77], v[62:63]
	v_fma_f64 v[106:107], v[74:75], v[60:61], v[72:73]
	v_mul_f64 v[60:61], v[76:77], v[60:61]
	v_fma_f64 v[100:101], v[74:75], v[62:63], -v[60:61]
	buffer_load_dword v72, off, s[48:51], 0 offset:300 ; 4-byte Folded Reload
	buffer_load_dword v73, off, s[48:51], 0 offset:304 ; 4-byte Folded Reload
	;; [unrolled: 1-line block ×4, first 2 shown]
	s_waitcnt vmcnt(0) lgkmcnt(10)
	v_mul_f64 v[60:61], v[74:75], v[58:59]
	v_fma_f64 v[62:63], v[72:73], v[56:57], v[60:61]
	v_mul_f64 v[56:57], v[74:75], v[56:57]
	v_fma_f64 v[102:103], v[72:73], v[58:59], -v[56:57]
	buffer_load_dword v58, off, s[48:51], 0 offset:412 ; 4-byte Folded Reload
	buffer_load_dword v59, off, s[48:51], 0 offset:416 ; 4-byte Folded Reload
	;; [unrolled: 1-line block ×4, first 2 shown]
	s_waitcnt vmcnt(0) lgkmcnt(7)
	v_mul_f64 v[56:57], v[60:61], v[54:55]
	v_fma_f64 v[94:95], v[58:59], v[52:53], v[56:57]
	v_mul_f64 v[52:53], v[60:61], v[52:53]
	v_add_f64 v[60:61], v[62:63], -v[106:107]
	v_fma_f64 v[84:85], v[58:59], v[54:55], -v[52:53]
	buffer_load_dword v56, off, s[48:51], 0 offset:396 ; 4-byte Folded Reload
	buffer_load_dword v57, off, s[48:51], 0 offset:400 ; 4-byte Folded Reload
	buffer_load_dword v58, off, s[48:51], 0 offset:404 ; 4-byte Folded Reload
	buffer_load_dword v59, off, s[48:51], 0 offset:408 ; 4-byte Folded Reload
	s_waitcnt vmcnt(0) lgkmcnt(5)
	v_mul_f64 v[52:53], v[58:59], v[50:51]
	v_fma_f64 v[54:55], v[56:57], v[48:49], v[52:53]
	v_mul_f64 v[48:49], v[58:59], v[48:49]
	v_add_f64 v[52:53], v[66:67], -v[104:105]
	v_fma_f64 v[86:87], v[56:57], v[50:51], -v[48:49]
	buffer_load_dword v56, off, s[48:51], 0 offset:380 ; 4-byte Folded Reload
	buffer_load_dword v57, off, s[48:51], 0 offset:384 ; 4-byte Folded Reload
	buffer_load_dword v58, off, s[48:51], 0 offset:388 ; 4-byte Folded Reload
	buffer_load_dword v59, off, s[48:51], 0 offset:392 ; 4-byte Folded Reload
	v_add_f64 v[52:53], v[52:53], v[60:61]
	s_waitcnt vmcnt(0) lgkmcnt(3)
	v_mul_f64 v[48:49], v[58:59], v[46:47]
	v_fma_f64 v[50:51], v[56:57], v[44:45], v[48:49]
	v_mul_f64 v[44:45], v[58:59], v[44:45]
	v_fma_f64 v[90:91], v[56:57], v[46:47], -v[44:45]
	buffer_load_dword v46, off, s[48:51], 0 offset:364 ; 4-byte Folded Reload
	buffer_load_dword v47, off, s[48:51], 0 offset:368 ; 4-byte Folded Reload
	;; [unrolled: 1-line block ×4, first 2 shown]
	s_waitcnt vmcnt(0) lgkmcnt(1)
	v_mul_f64 v[44:45], v[48:49], v[42:43]
	v_fma_f64 v[96:97], v[46:47], v[40:41], v[44:45]
	v_mul_f64 v[40:41], v[48:49], v[40:41]
	v_add_f64 v[48:49], v[98:99], -v[100:101]
	v_fma_f64 v[92:93], v[46:47], v[42:43], -v[40:41]
	buffer_load_dword v42, off, s[48:51], 0 offset:476 ; 4-byte Folded Reload
	buffer_load_dword v43, off, s[48:51], 0 offset:480 ; 4-byte Folded Reload
	buffer_load_dword v44, off, s[48:51], 0 offset:484 ; 4-byte Folded Reload
	buffer_load_dword v45, off, s[48:51], 0 offset:488 ; 4-byte Folded Reload
	v_add_f64 v[46:47], v[114:115], -v[118:119]
	s_waitcnt vmcnt(0)
	v_mul_f64 v[40:41], v[44:45], v[38:39]
	v_fma_f64 v[76:77], v[42:43], v[36:37], v[40:41]
	v_mul_f64 v[36:37], v[44:45], v[36:37]
	v_add_f64 v[44:45], v[118:119], -v[114:115]
	v_fma_f64 v[56:57], v[42:43], v[38:39], -v[36:37]
	buffer_load_dword v38, off, s[48:51], 0 offset:460 ; 4-byte Folded Reload
	buffer_load_dword v39, off, s[48:51], 0 offset:464 ; 4-byte Folded Reload
	buffer_load_dword v40, off, s[48:51], 0 offset:468 ; 4-byte Folded Reload
	buffer_load_dword v41, off, s[48:51], 0 offset:472 ; 4-byte Folded Reload
	v_add_f64 v[42:43], v[108:109], -v[112:113]
	s_waitcnt vmcnt(0)
	;; [unrolled: 11-line block ×3, first 2 shown]
	v_mul_f64 v[16:17], v[38:39], v[14:15]
	v_fma_f64 v[80:81], v[36:37], v[12:13], v[16:17]
	v_mul_f64 v[12:13], v[38:39], v[12:13]
	v_add_f64 v[38:39], v[112:113], -v[116:117]
	v_fma_f64 v[72:73], v[36:37], v[14:15], -v[12:13]
	buffer_load_dword v14, off, s[48:51], 0 offset:428 ; 4-byte Folded Reload
	buffer_load_dword v15, off, s[48:51], 0 offset:432 ; 4-byte Folded Reload
	;; [unrolled: 1-line block ×4, first 2 shown]
	v_add_f64 v[36:37], v[116:117], -v[112:113]
	s_waitcnt lgkmcnt(0)
	; wave barrier
	s_waitcnt vmcnt(0) lgkmcnt(0)
	v_mul_f64 v[12:13], v[16:17], v[10:11]
	v_fma_f64 v[82:83], v[14:15], v[8:9], v[12:13]
	v_mul_f64 v[8:9], v[16:17], v[8:9]
	v_add_f64 v[16:17], v[64:65], -v[108:109]
	v_fma_f64 v[74:75], v[14:15], v[10:11], -v[8:9]
	v_add_f64 v[10:11], v[108:109], v[112:113]
	v_add_f64 v[14:15], v[68:69], -v[118:119]
	v_add_f64 v[36:37], v[16:17], v[36:37]
	v_add_f64 v[8:9], v[24:25], v[64:65]
	v_fma_f64 v[10:11], v[10:11], -0.5, v[24:25]
	v_add_f64 v[8:9], v[8:9], v[108:109]
	v_fma_f64 v[12:13], v[14:15], s[4:5], v[10:11]
	v_fma_f64 v[10:11], v[14:15], s[16:17], v[10:11]
	v_add_f64 v[8:9], v[8:9], v[112:113]
	v_fma_f64 v[12:13], v[18:19], s[12:13], v[12:13]
	v_fma_f64 v[10:11], v[18:19], s[14:15], v[10:11]
	;; [unrolled: 3-line block ×3, first 2 shown]
	v_add_f64 v[10:11], v[64:65], v[116:117]
	v_add_f64 v[36:37], v[108:109], -v[64:65]
	v_fma_f64 v[10:11], v[10:11], -0.5, v[24:25]
	v_add_f64 v[38:39], v[36:37], v[38:39]
	v_fma_f64 v[24:25], v[18:19], s[16:17], v[10:11]
	v_fma_f64 v[10:11], v[18:19], s[4:5], v[10:11]
	;; [unrolled: 1-line block ×4, first 2 shown]
	v_add_f64 v[14:15], v[110:111], v[114:115]
	v_fma_f64 v[36:37], v[38:39], s[2:3], v[24:25]
	v_fma_f64 v[24:25], v[38:39], s[2:3], v[10:11]
	v_fma_f64 v[14:15], v[14:15], -0.5, v[26:27]
	v_add_f64 v[38:39], v[68:69], -v[110:111]
	v_add_f64 v[10:11], v[26:27], v[68:69]
	v_fma_f64 v[18:19], v[40:41], s[16:17], v[14:15]
	v_fma_f64 v[14:15], v[40:41], s[4:5], v[14:15]
	v_add_f64 v[38:39], v[38:39], v[44:45]
	v_add_f64 v[44:45], v[110:111], -v[68:69]
	v_add_f64 v[10:11], v[10:11], v[110:111]
	v_fma_f64 v[18:19], v[42:43], s[14:15], v[18:19]
	v_fma_f64 v[14:15], v[42:43], s[12:13], v[14:15]
	v_add_f64 v[44:45], v[44:45], v[46:47]
	v_add_f64 v[10:11], v[10:11], v[114:115]
	v_fma_f64 v[18:19], v[38:39], s[2:3], v[18:19]
	v_fma_f64 v[14:15], v[38:39], s[2:3], v[14:15]
	v_add_f64 v[38:39], v[68:69], v[118:119]
	v_add_f64 v[10:11], v[10:11], v[118:119]
	v_fma_f64 v[26:27], v[38:39], -0.5, v[26:27]
	v_fma_f64 v[38:39], v[42:43], s[4:5], v[26:27]
	v_fma_f64 v[26:27], v[42:43], s[16:17], v[26:27]
	v_add_f64 v[42:43], v[104:105], v[106:107]
	v_fma_f64 v[38:39], v[40:41], s[14:15], v[38:39]
	v_fma_f64 v[26:27], v[40:41], s[12:13], v[26:27]
	v_fma_f64 v[42:43], v[42:43], -0.5, v[20:21]
	v_add_f64 v[40:41], v[20:21], v[66:67]
	v_fma_f64 v[38:39], v[44:45], s[2:3], v[38:39]
	v_fma_f64 v[26:27], v[44:45], s[2:3], v[26:27]
	v_add_f64 v[44:45], v[70:71], -v[102:103]
	v_add_f64 v[40:41], v[40:41], v[104:105]
	v_fma_f64 v[46:47], v[44:45], s[4:5], v[42:43]
	v_fma_f64 v[42:43], v[44:45], s[16:17], v[42:43]
	v_add_f64 v[40:41], v[40:41], v[106:107]
	v_fma_f64 v[46:47], v[48:49], s[12:13], v[46:47]
	v_fma_f64 v[42:43], v[48:49], s[14:15], v[42:43]
	;; [unrolled: 3-line block ×3, first 2 shown]
	v_add_f64 v[42:43], v[66:67], v[62:63]
	v_add_f64 v[46:47], v[104:105], -v[66:67]
	v_add_f64 v[52:53], v[106:107], -v[62:63]
	v_fma_f64 v[20:21], v[42:43], -0.5, v[20:21]
	v_add_f64 v[46:47], v[46:47], v[52:53]
	v_add_f64 v[52:53], v[104:105], -v[106:107]
	v_add_f64 v[104:105], v[50:51], -v[96:97]
	v_fma_f64 v[42:43], v[48:49], s[16:17], v[20:21]
	v_fma_f64 v[20:21], v[48:49], s[4:5], v[20:21]
	;; [unrolled: 1-line block ×4, first 2 shown]
	v_add_f64 v[44:45], v[98:99], v[100:101]
	v_fma_f64 v[68:69], v[46:47], s[2:3], v[42:43]
	v_fma_f64 v[20:21], v[46:47], s[2:3], v[20:21]
	v_fma_f64 v[44:45], v[44:45], -0.5, v[22:23]
	v_add_f64 v[46:47], v[66:67], -v[62:63]
	v_add_f64 v[62:63], v[70:71], -v[98:99]
	;; [unrolled: 1-line block ×3, first 2 shown]
	v_add_f64 v[42:43], v[22:23], v[70:71]
	v_fma_f64 v[48:49], v[46:47], s[16:17], v[44:45]
	v_fma_f64 v[44:45], v[46:47], s[4:5], v[44:45]
	v_add_f64 v[62:63], v[62:63], v[66:67]
	v_add_f64 v[42:43], v[42:43], v[98:99]
	v_fma_f64 v[48:49], v[52:53], s[14:15], v[48:49]
	v_fma_f64 v[44:45], v[52:53], s[12:13], v[44:45]
	v_add_f64 v[42:43], v[42:43], v[100:101]
	v_fma_f64 v[66:67], v[62:63], s[2:3], v[48:49]
	v_fma_f64 v[62:63], v[62:63], s[2:3], v[44:45]
	v_add_f64 v[44:45], v[70:71], v[102:103]
	v_add_f64 v[48:49], v[98:99], -v[70:71]
	v_add_f64 v[70:71], v[100:101], -v[102:103]
	;; [unrolled: 1-line block ×3, first 2 shown]
	v_add_f64 v[42:43], v[42:43], v[102:103]
	v_add_f64 v[100:101], v[86:87], -v[90:91]
	v_add_f64 v[102:103], v[96:97], -v[50:51]
	v_fma_f64 v[22:23], v[44:45], -0.5, v[22:23]
	v_add_f64 v[48:49], v[48:49], v[70:71]
	v_fma_f64 v[44:45], v[52:53], s[4:5], v[22:23]
	v_fma_f64 v[22:23], v[52:53], s[16:17], v[22:23]
	v_add_f64 v[52:53], v[94:95], -v[54:55]
	v_fma_f64 v[44:45], v[46:47], s[14:15], v[44:45]
	v_fma_f64 v[22:23], v[46:47], s[12:13], v[22:23]
	v_add_f64 v[46:47], v[54:55], v[50:51]
	v_add_f64 v[102:103], v[52:53], v[102:103]
	v_fma_f64 v[70:71], v[48:49], s[2:3], v[44:45]
	v_fma_f64 v[22:23], v[48:49], s[2:3], v[22:23]
	v_fma_f64 v[46:47], v[46:47], -0.5, v[4:5]
	v_add_f64 v[44:45], v[4:5], v[94:95]
	v_fma_f64 v[48:49], v[98:99], s[4:5], v[46:47]
	v_fma_f64 v[46:47], v[98:99], s[16:17], v[46:47]
	v_add_f64 v[44:45], v[44:45], v[54:55]
	v_fma_f64 v[48:49], v[100:101], s[12:13], v[48:49]
	v_fma_f64 v[46:47], v[100:101], s[14:15], v[46:47]
	;; [unrolled: 3-line block ×3, first 2 shown]
	v_add_f64 v[46:47], v[94:95], v[96:97]
	v_add_f64 v[102:103], v[54:55], -v[94:95]
	v_add_f64 v[94:95], v[94:95], -v[96:97]
	v_add_f64 v[44:45], v[44:45], v[96:97]
	v_fma_f64 v[46:47], v[46:47], -0.5, v[4:5]
	v_add_f64 v[102:103], v[102:103], v[104:105]
	v_add_f64 v[104:105], v[80:81], -v[82:83]
	v_fma_f64 v[4:5], v[100:101], s[16:17], v[46:47]
	v_fma_f64 v[46:47], v[100:101], s[4:5], v[46:47]
	v_add_f64 v[100:101], v[86:87], v[90:91]
	v_fma_f64 v[4:5], v[98:99], s[12:13], v[4:5]
	v_fma_f64 v[46:47], v[98:99], s[14:15], v[46:47]
	v_fma_f64 v[100:101], v[100:101], -0.5, v[6:7]
	v_fma_f64 v[4:5], v[102:103], s[2:3], v[4:5]
	v_fma_f64 v[98:99], v[102:103], s[2:3], v[46:47]
	;; [unrolled: 1-line block ×3, first 2 shown]
	v_add_f64 v[102:103], v[54:55], -v[50:51]
	v_add_f64 v[54:55], v[84:85], -v[86:87]
	v_add_f64 v[46:47], v[6:7], v[84:85]
	v_fma_f64 v[50:51], v[102:103], s[14:15], v[96:97]
	v_add_f64 v[96:97], v[92:93], -v[90:91]
	v_add_f64 v[46:47], v[46:47], v[86:87]
	v_add_f64 v[96:97], v[54:55], v[96:97]
	;; [unrolled: 1-line block ×3, first 2 shown]
	v_fma_f64 v[54:55], v[96:97], s[2:3], v[50:51]
	v_fma_f64 v[50:51], v[94:95], s[4:5], v[100:101]
	v_add_f64 v[46:47], v[46:47], v[92:93]
	v_fma_f64 v[50:51], v[102:103], s[12:13], v[50:51]
	v_fma_f64 v[50:51], v[96:97], s[2:3], v[50:51]
	v_add_f64 v[96:97], v[84:85], v[92:93]
	v_add_f64 v[84:85], v[86:87], -v[84:85]
	v_add_f64 v[86:87], v[90:91], -v[92:93]
	;; [unrolled: 1-line block ×3, first 2 shown]
	v_fma_f64 v[96:97], v[96:97], -0.5, v[6:7]
	v_add_f64 v[84:85], v[84:85], v[86:87]
	v_fma_f64 v[86:87], v[102:103], s[16:17], v[96:97]
	v_fma_f64 v[6:7], v[102:103], s[4:5], v[96:97]
	v_add_f64 v[96:97], v[58:59], -v[72:73]
	v_add_f64 v[102:103], v[82:83], -v[80:81]
	v_fma_f64 v[86:87], v[94:95], s[12:13], v[86:87]
	v_fma_f64 v[6:7], v[94:95], s[14:15], v[6:7]
	v_add_f64 v[94:95], v[76:77], -v[78:79]
	v_fma_f64 v[100:101], v[84:85], s[2:3], v[86:87]
	v_add_f64 v[86:87], v[78:79], v[80:81]
	v_add_f64 v[94:95], v[94:95], v[102:103]
	v_fma_f64 v[6:7], v[84:85], s[2:3], v[6:7]
	v_add_f64 v[84:85], v[0:1], v[76:77]
	v_add_f64 v[102:103], v[78:79], -v[76:77]
	v_fma_f64 v[86:87], v[86:87], -0.5, v[0:1]
	v_add_f64 v[84:85], v[84:85], v[78:79]
	v_add_f64 v[78:79], v[78:79], -v[80:81]
	v_add_f64 v[102:103], v[102:103], v[104:105]
	v_fma_f64 v[90:91], v[92:93], s[4:5], v[86:87]
	v_fma_f64 v[86:87], v[92:93], s[16:17], v[86:87]
	v_add_f64 v[84:85], v[84:85], v[80:81]
	v_fma_f64 v[90:91], v[96:97], s[12:13], v[90:91]
	v_fma_f64 v[86:87], v[96:97], s[14:15], v[86:87]
	;; [unrolled: 3-line block ×3, first 2 shown]
	v_add_f64 v[86:87], v[76:77], v[82:83]
	v_add_f64 v[76:77], v[76:77], -v[82:83]
	v_fma_f64 v[86:87], v[86:87], -0.5, v[0:1]
	v_fma_f64 v[0:1], v[96:97], s[16:17], v[86:87]
	v_fma_f64 v[86:87], v[96:97], s[4:5], v[86:87]
	;; [unrolled: 1-line block ×4, first 2 shown]
	v_add_f64 v[92:93], v[58:59], v[72:73]
	v_fma_f64 v[0:1], v[102:103], s[2:3], v[0:1]
	v_fma_f64 v[102:103], v[102:103], s[2:3], v[86:87]
	v_fma_f64 v[96:97], v[92:93], -0.5, v[2:3]
	v_add_f64 v[92:93], v[74:75], -v[72:73]
	v_add_f64 v[86:87], v[2:3], v[56:57]
	v_fma_f64 v[82:83], v[76:77], s[16:17], v[96:97]
	v_add_f64 v[86:87], v[86:87], v[58:59]
	v_fma_f64 v[80:81], v[78:79], s[14:15], v[82:83]
	v_add_f64 v[82:83], v[56:57], -v[58:59]
	v_add_f64 v[86:87], v[86:87], v[72:73]
	v_add_f64 v[82:83], v[82:83], v[92:93]
	;; [unrolled: 1-line block ×3, first 2 shown]
	v_fma_f64 v[92:93], v[82:83], s[2:3], v[80:81]
	v_fma_f64 v[80:81], v[76:77], s[4:5], v[96:97]
	;; [unrolled: 1-line block ×4, first 2 shown]
	v_add_f64 v[80:81], v[56:57], v[74:75]
	v_add_f64 v[56:57], v[58:59], -v[56:57]
	v_add_f64 v[58:59], v[72:73], -v[74:75]
	v_fma_f64 v[80:81], v[80:81], -0.5, v[2:3]
	v_add_f64 v[56:57], v[56:57], v[58:59]
	v_fma_f64 v[2:3], v[78:79], s[4:5], v[80:81]
	v_fma_f64 v[58:59], v[78:79], s[16:17], v[80:81]
	;; [unrolled: 1-line block ×6, first 2 shown]
	buffer_load_dword v56, off, s[48:51], 0 offset:512 ; 4-byte Folded Reload
	s_waitcnt vmcnt(0)
	ds_write_b128 v56, v[8:11]
	ds_write_b128 v56, v[16:19] offset:176
	ds_write_b128 v56, v[36:39] offset:352
	ds_write_b128 v56, v[24:27] offset:528
	ds_write_b128 v56, v[12:15] offset:704
	buffer_load_dword v8, off, s[48:51], 0 offset:516 ; 4-byte Folded Reload
	s_waitcnt vmcnt(0)
	ds_write_b128 v8, v[40:43]
	ds_write_b128 v8, v[64:67] offset:176
	ds_write_b128 v8, v[68:71] offset:352
	ds_write_b128 v8, v[20:23] offset:528
	ds_write_b128 v8, v[60:63] offset:704
	;; [unrolled: 7-line block ×4, first 2 shown]
	s_and_saveexec_b64 s[18:19], s[0:1]
	s_cbranch_execz .LBB0_21
; %bb.20:
	buffer_load_dword v36, off, s[48:51], 0 offset:680 ; 4-byte Folded Reload
	buffer_load_dword v37, off, s[48:51], 0 offset:684 ; 4-byte Folded Reload
	;; [unrolled: 1-line block ×16, first 2 shown]
	buffer_load_dword v44, off, s[48:51], 0 ; 4-byte Folded Reload
	buffer_load_dword v45, off, s[48:51], 0 offset:4 ; 4-byte Folded Reload
	buffer_load_dword v46, off, s[48:51], 0 offset:8 ; 4-byte Folded Reload
	buffer_load_dword v47, off, s[48:51], 0 offset:12 ; 4-byte Folded Reload
	buffer_load_dword v22, off, s[48:51], 0 offset:664 ; 4-byte Folded Reload
	buffer_load_dword v23, off, s[48:51], 0 offset:668 ; 4-byte Folded Reload
	buffer_load_dword v24, off, s[48:51], 0 offset:672 ; 4-byte Folded Reload
	buffer_load_dword v25, off, s[48:51], 0 offset:676 ; 4-byte Folded Reload
	buffer_load_dword v52, off, s[48:51], 0 offset:32 ; 4-byte Folded Reload
	buffer_load_dword v53, off, s[48:51], 0 offset:36 ; 4-byte Folded Reload
	buffer_load_dword v54, off, s[48:51], 0 offset:40 ; 4-byte Folded Reload
	buffer_load_dword v55, off, s[48:51], 0 offset:44 ; 4-byte Folded Reload
	s_waitcnt vmcnt(22)
	v_mul_f64 v[0:1], v[38:39], v[48:49]
	s_waitcnt vmcnt(16)
	v_mul_f64 v[2:3], v[42:43], v[32:33]
	;; [unrolled: 2-line block ×4, first 2 shown]
	v_mul_f64 v[8:9], v[38:39], v[50:51]
	s_waitcnt vmcnt(0)
	v_mul_f64 v[10:11], v[24:25], v[54:55]
	v_mul_f64 v[12:13], v[42:43], v[34:35]
	;; [unrolled: 1-line block ×3, first 2 shown]
	v_fma_f64 v[0:1], v[36:37], v[50:51], -v[0:1]
	v_fma_f64 v[2:3], v[40:41], v[34:35], -v[2:3]
	;; [unrolled: 1-line block ×4, first 2 shown]
	v_fma_f64 v[8:9], v[36:37], v[48:49], v[8:9]
	v_fma_f64 v[10:11], v[22:23], v[52:53], v[10:11]
	;; [unrolled: 1-line block ×4, first 2 shown]
	v_add_f64 v[14:15], v[0:1], -v[2:3]
	v_add_f64 v[6:7], v[2:3], v[4:5]
	v_add_f64 v[26:27], v[0:1], v[16:17]
	v_add_f64 v[18:19], v[16:17], -v[4:5]
	v_add_f64 v[22:23], v[8:9], -v[10:11]
	v_add_f64 v[48:49], v[28:29], v[12:13]
	v_add_f64 v[24:25], v[12:13], -v[20:21]
	v_add_f64 v[32:33], v[2:3], -v[0:1]
	v_add_f64 v[36:37], v[30:31], v[2:3]
	v_fma_f64 v[6:7], v[6:7], -0.5, v[30:31]
	v_add_f64 v[38:39], v[8:9], -v[12:13]
	v_add_f64 v[42:43], v[2:3], -v[4:5]
	v_fma_f64 v[2:3], v[26:27], -0.5, v[30:31]
	v_add_f64 v[26:27], v[12:13], v[20:21]
	v_add_f64 v[46:47], v[8:9], v[10:11]
	v_add_f64 v[12:13], v[12:13], -v[8:9]
	v_add_f64 v[8:9], v[48:49], v[8:9]
	v_fma_f64 v[30:31], v[22:23], s[16:17], v[6:7]
	v_fma_f64 v[6:7], v[22:23], s[4:5], v[6:7]
	v_add_f64 v[44:45], v[0:1], -v[16:17]
	v_add_f64 v[14:15], v[14:15], v[18:19]
	v_fma_f64 v[18:19], v[24:25], s[4:5], v[2:3]
	v_fma_f64 v[2:3], v[24:25], s[16:17], v[2:3]
	v_add_f64 v[0:1], v[36:37], v[0:1]
	v_add_f64 v[8:9], v[8:9], v[10:11]
	v_fma_f64 v[30:31], v[24:25], s[12:13], v[30:31]
	v_fma_f64 v[6:7], v[24:25], s[14:15], v[6:7]
	v_add_f64 v[34:35], v[4:5], -v[16:17]
	v_add_f64 v[40:41], v[10:11], -v[20:21]
	v_fma_f64 v[18:19], v[22:23], s[12:13], v[18:19]
	v_fma_f64 v[22:23], v[22:23], s[14:15], v[2:3]
	v_add_f64 v[0:1], v[0:1], v[16:17]
	v_add_f64 v[16:17], v[8:9], v[20:21]
	v_fma_f64 v[2:3], v[14:15], s[2:3], v[30:31]
	v_fma_f64 v[6:7], v[14:15], s[2:3], v[6:7]
	v_add_f64 v[14:15], v[20:21], -v[10:11]
	buffer_load_dword v20, off, s[48:51], 0 offset:492 ; 4-byte Folded Reload
	v_fma_f64 v[26:27], v[26:27], -0.5, v[28:29]
	v_fma_f64 v[28:29], v[46:47], -0.5, v[28:29]
	v_add_f64 v[24:25], v[32:33], v[34:35]
	v_add_f64 v[34:35], v[38:39], v[40:41]
	;; [unrolled: 1-line block ×3, first 2 shown]
	v_fma_f64 v[32:33], v[44:45], s[16:17], v[26:27]
	v_fma_f64 v[30:31], v[42:43], s[4:5], v[28:29]
	;; [unrolled: 1-line block ×5, first 2 shown]
	v_add_f64 v[18:19], v[0:1], v[4:5]
	v_fma_f64 v[14:15], v[24:25], s[2:3], v[22:23]
	v_fma_f64 v[12:13], v[44:45], s[12:13], v[30:31]
	;; [unrolled: 1-line block ×9, first 2 shown]
	s_waitcnt vmcnt(0)
	ds_write_b128 v20, v[16:19] offset:17600
	ds_write_b128 v20, v[12:15] offset:17776
	;; [unrolled: 1-line block ×5, first 2 shown]
.LBB0_21:
	s_or_b64 exec, exec, s[18:19]
	s_waitcnt lgkmcnt(0)
	; wave barrier
	s_waitcnt lgkmcnt(0)
	ds_read_b128 v[0:3], v190
	ds_read_b128 v[4:7], v190 offset:880
	ds_read_b128 v[8:11], v190 offset:5280
	ds_read_b128 v[12:15], v190 offset:6160
	ds_read_b128 v[16:19], v190 offset:10560
	ds_read_b128 v[20:23], v190 offset:11440
	ds_read_b128 v[24:27], v190 offset:15840
	ds_read_b128 v[28:31], v190 offset:16720
	ds_read_b128 v[32:35], v190 offset:2640
	ds_read_b128 v[36:39], v190 offset:1760
	ds_read_b128 v[40:43], v190 offset:3520
	ds_read_b128 v[44:47], v190 offset:4400
	ds_read_b128 v[48:51], v190 offset:7920
	ds_read_b128 v[52:55], v190 offset:7040
	s_waitcnt lgkmcnt(5)
	v_mul_f64 v[80:81], v[154:155], v[34:35]
	v_mul_f64 v[82:83], v[154:155], v[32:33]
	;; [unrolled: 1-line block ×3, first 2 shown]
	ds_read_b128 v[56:59], v190 offset:8800
	ds_read_b128 v[60:63], v190 offset:9680
	;; [unrolled: 1-line block ×6, first 2 shown]
	v_mul_f64 v[86:87], v[138:139], v[18:19]
	v_mul_f64 v[90:91], v[138:139], v[16:17]
	s_waitcnt lgkmcnt(3)
	v_mul_f64 v[92:93], v[162:163], v[66:67]
	v_fma_f64 v[32:33], v[152:153], v[32:33], v[80:81]
	v_fma_f64 v[34:35], v[152:153], v[34:35], -v[82:83]
	v_mul_f64 v[80:81], v[146:147], v[8:9]
	v_fma_f64 v[82:83], v[144:145], v[8:9], v[84:85]
	v_mul_f64 v[8:9], v[142:143], v[50:51]
	v_mul_f64 v[84:85], v[142:143], v[48:49]
	;; [unrolled: 1-line block ×3, first 2 shown]
	v_fma_f64 v[16:17], v[136:137], v[16:17], v[86:87]
	v_fma_f64 v[18:19], v[136:137], v[18:19], -v[90:91]
	v_fma_f64 v[64:65], v[160:161], v[64:65], v[92:93]
	v_fma_f64 v[80:81], v[144:145], v[10:11], -v[80:81]
	v_mul_f64 v[10:11], v[150:151], v[26:27]
	v_fma_f64 v[48:49], v[140:141], v[48:49], v[8:9]
	v_mul_f64 v[8:9], v[150:151], v[24:25]
	v_fma_f64 v[50:51], v[140:141], v[50:51], -v[84:85]
	v_mul_f64 v[84:85], v[154:155], v[42:43]
	v_mul_f64 v[86:87], v[154:155], v[40:41]
	;; [unrolled: 1-line block ×4, first 2 shown]
	v_fma_f64 v[24:25], v[148:149], v[24:25], v[10:11]
	v_fma_f64 v[66:67], v[160:161], v[66:67], -v[94:95]
	v_fma_f64 v[26:27], v[148:149], v[26:27], -v[8:9]
	ds_read_b128 v[8:11], v190 offset:17600
	buffer_load_dword v106, off, s[48:51], 0 offset:576 ; 4-byte Folded Reload
	buffer_load_dword v107, off, s[48:51], 0 offset:580 ; 4-byte Folded Reload
	;; [unrolled: 1-line block ×8, first 2 shown]
	v_fma_f64 v[40:41], v[152:153], v[40:41], v[84:85]
	v_fma_f64 v[42:43], v[152:153], v[42:43], -v[86:87]
	v_fma_f64 v[84:85], v[144:145], v[12:13], v[90:91]
	v_fma_f64 v[86:87], v[144:145], v[14:15], -v[92:93]
	s_waitcnt lgkmcnt(2)
	v_mul_f64 v[90:91], v[162:163], v[74:75]
	v_mul_f64 v[92:93], v[162:163], v[72:73]
	buffer_load_dword v110, off, s[48:51], 0 offset:544 ; 4-byte Folded Reload
	buffer_load_dword v111, off, s[48:51], 0 offset:548 ; 4-byte Folded Reload
	buffer_load_dword v112, off, s[48:51], 0 offset:552 ; 4-byte Folded Reload
	buffer_load_dword v113, off, s[48:51], 0 offset:556 ; 4-byte Folded Reload
	v_mul_f64 v[12:13], v[138:139], v[22:23]
	v_mul_f64 v[14:15], v[138:139], v[20:21]
	;; [unrolled: 1-line block ×4, first 2 shown]
	s_mov_b32 s2, 0x37e14327
	v_fma_f64 v[72:73], v[160:161], v[72:73], v[90:91]
	v_fma_f64 v[74:75], v[160:161], v[74:75], -v[92:93]
	s_mov_b32 s0, 0x36b3c0b5
	v_fma_f64 v[102:103], v[136:137], v[20:21], v[12:13]
	v_fma_f64 v[104:105], v[136:137], v[22:23], -v[14:15]
	v_fma_f64 v[56:57], v[140:141], v[56:57], v[94:95]
	v_fma_f64 v[58:59], v[140:141], v[58:59], -v[96:97]
	v_mul_f64 v[94:95], v[150:151], v[30:31]
	v_mul_f64 v[96:97], v[150:151], v[28:29]
	s_mov_b32 s12, 0xe976ee23
	s_mov_b32 s4, 0x429ad128
	;; [unrolled: 1-line block ×6, first 2 shown]
	v_fma_f64 v[28:29], v[148:149], v[28:29], v[94:95]
	v_fma_f64 v[30:31], v[148:149], v[30:31], -v[96:97]
	s_mov_b32 s14, 0xaaaaaaaa
	s_mov_b32 s16, 0x5476071b
	;; [unrolled: 1-line block ×12, first 2 shown]
	s_waitcnt vmcnt(8)
	v_mul_f64 v[98:99], v[108:109], v[46:47]
	v_mul_f64 v[100:101], v[108:109], v[44:45]
	s_waitcnt vmcnt(4)
	v_mul_f64 v[12:13], v[116:117], v[54:55]
	v_mul_f64 v[14:15], v[116:117], v[52:53]
	v_fma_f64 v[90:91], v[106:107], v[44:45], v[98:99]
	v_fma_f64 v[92:93], v[106:107], v[46:47], -v[100:101]
	buffer_load_dword v106, off, s[48:51], 0 offset:528 ; 4-byte Folded Reload
	buffer_load_dword v107, off, s[48:51], 0 offset:532 ; 4-byte Folded Reload
	;; [unrolled: 1-line block ×8, first 2 shown]
	s_waitcnt vmcnt(8)
	v_mul_f64 v[20:21], v[112:113], v[62:63]
	v_mul_f64 v[22:23], v[112:113], v[60:61]
	v_fma_f64 v[98:99], v[114:115], v[52:53], v[12:13]
	v_fma_f64 v[100:101], v[114:115], v[54:55], -v[14:15]
	v_add_f64 v[52:53], v[48:49], v[16:17]
	v_add_f64 v[54:55], v[50:51], v[18:19]
	v_add_f64 v[16:17], v[16:17], -v[48:49]
	v_add_f64 v[18:19], v[18:19], -v[50:51]
	v_fma_f64 v[60:61], v[110:111], v[60:61], v[20:21]
	v_fma_f64 v[62:63], v[110:111], v[62:63], -v[22:23]
	v_add_f64 v[20:21], v[32:33], v[24:25]
	v_add_f64 v[22:23], v[34:35], v[26:27]
	v_add_f64 v[24:25], v[32:33], -v[24:25]
	v_add_f64 v[26:27], v[34:35], -v[26:27]
	v_add_f64 v[32:33], v[82:83], v[64:65]
	v_add_f64 v[34:35], v[80:81], v[66:67]
	;; [unrolled: 1-line block ×8, first 2 shown]
	v_fma_f64 v[48:49], v[48:49], s[14:15], v[0:1]
	v_fma_f64 v[50:51], v[50:51], s[14:15], v[2:3]
	s_waitcnt vmcnt(4)
	v_mul_f64 v[44:45], v[108:109], v[70:71]
	v_mul_f64 v[46:47], v[108:109], v[68:69]
	s_waitcnt vmcnt(0) lgkmcnt(1)
	v_mul_f64 v[94:95], v[118:119], v[78:79]
	v_mul_f64 v[96:97], v[118:119], v[76:77]
	v_fma_f64 v[68:69], v[106:107], v[68:69], v[44:45]
	v_fma_f64 v[70:71], v[106:107], v[70:71], -v[46:47]
	buffer_load_dword v106, off, s[48:51], 0 offset:496 ; 4-byte Folded Reload
	buffer_load_dword v107, off, s[48:51], 0 offset:500 ; 4-byte Folded Reload
	;; [unrolled: 1-line block ×4, first 2 shown]
	v_add_f64 v[44:45], v[82:83], -v[64:65]
	v_add_f64 v[46:47], v[80:81], -v[66:67]
	v_fma_f64 v[76:77], v[116:117], v[76:77], v[94:95]
	v_fma_f64 v[78:79], v[116:117], v[78:79], -v[96:97]
	v_add_f64 v[64:65], v[32:33], -v[20:21]
	v_add_f64 v[66:67], v[34:35], -v[22:23]
	;; [unrolled: 1-line block ×6, first 2 shown]
	v_add_f64 v[80:81], v[16:17], v[44:45]
	v_add_f64 v[82:83], v[18:19], v[46:47]
	v_add_f64 v[94:95], v[16:17], -v[44:45]
	v_add_f64 v[96:97], v[18:19], -v[46:47]
	;; [unrolled: 1-line block ×6, first 2 shown]
	v_add_f64 v[24:25], v[80:81], v[24:25]
	v_add_f64 v[26:27], v[82:83], v[26:27]
	v_mul_f64 v[20:21], v[20:21], s[2:3]
	v_mul_f64 v[22:23], v[22:23], s[2:3]
	;; [unrolled: 1-line block ×8, first 2 shown]
	v_fma_f64 v[32:33], v[32:33], s[0:1], v[20:21]
	v_fma_f64 v[34:35], v[34:35], s[0:1], v[22:23]
	v_fma_f64 v[52:53], v[64:65], s[16:17], -v[52:53]
	v_fma_f64 v[54:55], v[66:67], s[16:17], -v[54:55]
	;; [unrolled: 1-line block ×4, first 2 shown]
	v_fma_f64 v[64:65], v[16:17], s[20:21], v[80:81]
	v_fma_f64 v[66:67], v[18:19], s[20:21], v[82:83]
	v_fma_f64 v[44:45], v[44:45], s[4:5], -v[80:81]
	v_fma_f64 v[46:47], v[46:47], s[4:5], -v[82:83]
	;; [unrolled: 1-line block ×4, first 2 shown]
	v_add_f64 v[32:33], v[32:33], v[48:49]
	v_add_f64 v[34:35], v[34:35], v[50:51]
	;; [unrolled: 1-line block ×6, first 2 shown]
	v_fma_f64 v[82:83], v[24:25], s[22:23], v[16:17]
	v_fma_f64 v[80:81], v[26:27], s[22:23], v[18:19]
	;; [unrolled: 1-line block ×4, first 2 shown]
	v_add_f64 v[44:45], v[40:41], v[28:29]
	v_add_f64 v[46:47], v[42:43], v[30:31]
	v_add_f64 v[28:29], v[40:41], -v[28:29]
	v_add_f64 v[30:31], v[42:43], -v[30:31]
	v_add_f64 v[40:41], v[84:85], v[72:73]
	v_add_f64 v[42:43], v[86:87], v[74:75]
	v_fma_f64 v[66:67], v[26:27], s[22:23], v[66:67]
	v_fma_f64 v[64:65], v[24:25], s[22:23], v[64:65]
	v_add_f64 v[16:17], v[52:53], -v[20:21]
	v_add_f64 v[18:19], v[22:23], v[54:55]
	v_add_f64 v[20:21], v[20:21], v[52:53]
	v_add_f64 v[22:23], v[54:55], -v[22:23]
	v_add_f64 v[24:25], v[48:49], -v[80:81]
	v_add_f64 v[26:27], v[82:83], v[50:51]
	v_add_f64 v[52:53], v[56:57], v[102:103]
	;; [unrolled: 1-line block ×3, first 2 shown]
	v_add_f64 v[56:57], v[102:103], -v[56:57]
	v_add_f64 v[58:59], v[104:105], -v[58:59]
	s_waitcnt lgkmcnt(0)
	; wave barrier
	s_waitcnt vmcnt(0) lgkmcnt(0)
	v_mul_f64 v[12:13], v[108:109], v[10:11]
	v_mul_f64 v[14:15], v[108:109], v[8:9]
	v_fma_f64 v[94:95], v[106:107], v[8:9], v[12:13]
	v_fma_f64 v[96:97], v[106:107], v[10:11], -v[14:15]
	v_add_f64 v[12:13], v[80:81], v[48:49]
	v_add_f64 v[14:15], v[50:51], -v[82:83]
	v_add_f64 v[48:49], v[84:85], -v[72:73]
	;; [unrolled: 1-line block ×3, first 2 shown]
	v_add_f64 v[72:73], v[40:41], v[44:45]
	v_add_f64 v[74:75], v[42:43], v[46:47]
	v_add_f64 v[80:81], v[40:41], -v[44:45]
	v_add_f64 v[82:83], v[42:43], -v[46:47]
	;; [unrolled: 1-line block ×6, first 2 shown]
	v_add_f64 v[84:85], v[56:57], v[48:49]
	v_add_f64 v[86:87], v[58:59], v[50:51]
	v_add_f64 v[102:103], v[56:57], -v[48:49]
	v_add_f64 v[104:105], v[58:59], -v[50:51]
	v_add_f64 v[52:53], v[52:53], v[72:73]
	v_add_f64 v[54:55], v[54:55], v[74:75]
	v_add_f64 v[48:49], v[48:49], -v[28:29]
	v_add_f64 v[50:51], v[50:51], -v[30:31]
	;; [unrolled: 1-line block ×4, first 2 shown]
	v_add_f64 v[28:29], v[84:85], v[28:29]
	v_add_f64 v[30:31], v[86:87], v[30:31]
	;; [unrolled: 1-line block ×4, first 2 shown]
	v_mul_f64 v[44:45], v[44:45], s[2:3]
	v_mul_f64 v[46:47], v[46:47], s[2:3]
	v_mul_f64 v[72:73], v[40:41], s[0:1]
	v_mul_f64 v[74:75], v[42:43], s[0:1]
	v_mul_f64 v[84:85], v[102:103], s[12:13]
	v_mul_f64 v[86:87], v[104:105], s[12:13]
	v_mul_f64 v[102:103], v[48:49], s[4:5]
	v_mul_f64 v[104:105], v[50:51], s[4:5]
	v_fma_f64 v[52:53], v[52:53], s[14:15], v[4:5]
	v_fma_f64 v[54:55], v[54:55], s[14:15], v[6:7]
	;; [unrolled: 1-line block ×4, first 2 shown]
	v_fma_f64 v[72:73], v[80:81], s[16:17], -v[72:73]
	v_fma_f64 v[74:75], v[82:83], s[16:17], -v[74:75]
	;; [unrolled: 1-line block ×4, first 2 shown]
	v_fma_f64 v[80:81], v[56:57], s[20:21], v[84:85]
	v_fma_f64 v[82:83], v[58:59], s[20:21], v[86:87]
	v_fma_f64 v[48:49], v[48:49], s[4:5], -v[84:85]
	v_fma_f64 v[50:51], v[50:51], s[4:5], -v[86:87]
	;; [unrolled: 1-line block ×4, first 2 shown]
	v_add_f64 v[84:85], v[40:41], v[52:53]
	v_add_f64 v[86:87], v[42:43], v[54:55]
	;; [unrolled: 1-line block ×6, first 2 shown]
	v_fma_f64 v[56:57], v[28:29], s[22:23], v[56:57]
	v_fma_f64 v[58:59], v[30:31], s[22:23], v[58:59]
	;; [unrolled: 1-line block ×4, first 2 shown]
	v_add_f64 v[8:9], v[66:67], v[32:33]
	v_add_f64 v[10:11], v[34:35], -v[64:65]
	v_fma_f64 v[82:83], v[30:31], s[22:23], v[82:83]
	v_fma_f64 v[80:81], v[28:29], s[22:23], v[80:81]
	v_add_f64 v[42:43], v[54:55], -v[56:57]
	v_add_f64 v[40:41], v[58:59], v[52:53]
	v_add_f64 v[44:45], v[72:73], -v[50:51]
	v_add_f64 v[46:47], v[102:103], v[74:75]
	v_add_f64 v[48:49], v[50:51], v[72:73]
	v_add_f64 v[50:51], v[74:75], -v[102:103]
	v_add_f64 v[52:53], v[52:53], -v[58:59]
	v_add_f64 v[54:55], v[56:57], v[54:55]
	v_add_f64 v[56:57], v[90:91], v[94:95]
	;; [unrolled: 1-line block ×5, first 2 shown]
	v_add_f64 v[28:29], v[32:33], -v[66:67]
	v_add_f64 v[30:31], v[64:65], v[34:35]
	v_add_f64 v[64:65], v[90:91], -v[94:95]
	v_add_f64 v[66:67], v[92:93], -v[96:97]
	v_add_f64 v[90:91], v[60:61], v[68:69]
	v_add_f64 v[92:93], v[62:63], v[70:71]
	v_add_f64 v[60:61], v[68:69], -v[60:61]
	v_add_f64 v[62:63], v[70:71], -v[62:63]
	v_add_f64 v[68:69], v[72:73], v[56:57]
	v_add_f64 v[70:71], v[74:75], v[58:59]
	v_add_f64 v[76:77], v[98:99], -v[76:77]
	v_add_f64 v[78:79], v[100:101], -v[78:79]
	;; [unrolled: 1-line block ×8, first 2 shown]
	v_add_f64 v[68:69], v[90:91], v[68:69]
	v_add_f64 v[70:71], v[92:93], v[70:71]
	;; [unrolled: 1-line block ×4, first 2 shown]
	v_add_f64 v[102:103], v[60:61], -v[76:77]
	v_add_f64 v[104:105], v[62:63], -v[78:79]
	v_mul_f64 v[56:57], v[56:57], s[2:3]
	v_mul_f64 v[58:59], v[58:59], s[2:3]
	v_add_f64 v[36:37], v[36:37], v[68:69]
	v_add_f64 v[38:39], v[38:39], v[70:71]
	v_mul_f64 v[90:91], v[72:73], s[0:1]
	v_mul_f64 v[92:93], v[74:75], s[0:1]
	v_add_f64 v[60:61], v[64:65], -v[60:61]
	v_add_f64 v[62:63], v[66:67], -v[62:63]
	;; [unrolled: 1-line block ×4, first 2 shown]
	v_add_f64 v[64:65], v[98:99], v[64:65]
	v_add_f64 v[66:67], v[100:101], v[66:67]
	v_mul_f64 v[98:99], v[102:103], s[12:13]
	v_mul_f64 v[100:101], v[104:105], s[12:13]
	v_fma_f64 v[68:69], v[68:69], s[14:15], v[36:37]
	v_fma_f64 v[70:71], v[70:71], s[14:15], v[38:39]
	;; [unrolled: 1-line block ×4, first 2 shown]
	v_fma_f64 v[90:91], v[94:95], s[16:17], -v[90:91]
	v_fma_f64 v[92:93], v[96:97], s[16:17], -v[92:93]
	;; [unrolled: 1-line block ×4, first 2 shown]
	v_add_f64 v[32:33], v[82:83], v[84:85]
	v_add_f64 v[34:35], v[86:87], -v[80:81]
	v_mul_f64 v[102:103], v[76:77], s[4:5]
	v_mul_f64 v[104:105], v[78:79], s[4:5]
	v_fma_f64 v[94:95], v[60:61], s[20:21], v[98:99]
	v_fma_f64 v[96:97], v[62:63], s[20:21], v[100:101]
	v_fma_f64 v[76:77], v[76:77], s[4:5], -v[98:99]
	v_fma_f64 v[78:79], v[78:79], s[4:5], -v[100:101]
	v_add_f64 v[98:99], v[72:73], v[68:69]
	v_add_f64 v[100:101], v[74:75], v[70:71]
	;; [unrolled: 1-line block ×6, first 2 shown]
	v_add_f64 v[56:57], v[84:85], -v[82:83]
	v_add_f64 v[58:59], v[80:81], v[86:87]
	ds_write_b128 v190, v[0:3]
	ds_write_b128 v190, v[8:11] offset:880
	ds_write_b128 v190, v[12:15] offset:1760
	;; [unrolled: 1-line block ×13, first 2 shown]
	buffer_load_dword v0, off, s[48:51], 0 offset:608 ; 4-byte Folded Reload
	v_fma_f64 v[60:61], v[60:61], s[24:25], -v[102:103]
	v_fma_f64 v[62:63], v[62:63], s[24:25], -v[104:105]
	v_fma_f64 v[96:97], v[66:67], s[22:23], v[96:97]
	v_fma_f64 v[94:95], v[64:65], s[22:23], v[94:95]
	;; [unrolled: 1-line block ×4, first 2 shown]
	s_mov_b32 s0, 0xe8584caa
	s_mov_b32 s1, 0xbfebb67a
	v_fma_f64 v[104:105], v[64:65], s[22:23], v[60:61]
	v_fma_f64 v[102:103], v[66:67], s[22:23], v[62:63]
	v_add_f64 v[60:61], v[96:97], v[98:99]
	v_add_f64 v[62:63], v[100:101], -v[94:95]
	v_add_f64 v[68:69], v[72:73], -v[78:79]
	v_add_f64 v[70:71], v[76:77], v[74:75]
	v_add_f64 v[72:73], v[78:79], v[72:73]
	v_add_f64 v[74:75], v[74:75], -v[76:77]
	v_add_f64 v[66:67], v[92:93], -v[104:105]
	v_add_f64 v[64:65], v[102:103], v[90:91]
	v_add_f64 v[76:77], v[90:91], -v[102:103]
	v_add_f64 v[78:79], v[104:105], v[92:93]
	;; [unrolled: 2-line block ×3, first 2 shown]
	s_waitcnt vmcnt(0)
	ds_write_b128 v0, v[36:39] offset:12320
	ds_write_b128 v0, v[60:63] offset:13200
	;; [unrolled: 1-line block ×7, first 2 shown]
	s_waitcnt lgkmcnt(0)
	; wave barrier
	s_waitcnt lgkmcnt(0)
	ds_read_b128 v[0:3], v190 offset:6160
	ds_read_b128 v[4:7], v190
	ds_read_b128 v[8:11], v190 offset:880
	ds_read_b128 v[12:15], v190 offset:12320
	;; [unrolled: 1-line block ×16, first 2 shown]
	buffer_load_dword v98, off, s[48:51], 0 offset:612 ; 4-byte Folded Reload
	buffer_load_dword v99, off, s[48:51], 0 offset:616 ; 4-byte Folded Reload
	;; [unrolled: 1-line block ×4, first 2 shown]
	ds_read_b128 v[72:75], v190 offset:10560
	ds_read_b128 v[76:79], v190 offset:11440
	s_waitcnt lgkmcnt(14)
	v_mul_f64 v[96:97], v[198:199], v[20:21]
	v_mul_f64 v[94:95], v[198:199], v[22:23]
	s_mov_b32 s3, 0x3febb67a
	s_mov_b32 s2, s0
	v_fma_f64 v[22:23], v[196:197], v[22:23], -v[96:97]
	s_waitcnt lgkmcnt(8)
	v_mul_f64 v[96:97], v[214:215], v[46:47]
	v_fma_f64 v[20:21], v[196:197], v[20:21], v[94:95]
	v_mul_f64 v[94:95], v[206:207], v[36:37]
	s_waitcnt vmcnt(0)
	v_mul_f64 v[84:85], v[100:101], v[2:3]
	v_mul_f64 v[86:87], v[100:101], v[0:1]
	buffer_load_dword v100, off, s[48:51], 0 offset:628 ; 4-byte Folded Reload
	buffer_load_dword v101, off, s[48:51], 0 offset:632 ; 4-byte Folded Reload
	buffer_load_dword v102, off, s[48:51], 0 offset:636 ; 4-byte Folded Reload
	buffer_load_dword v103, off, s[48:51], 0 offset:640 ; 4-byte Folded Reload
	ds_read_b128 v[80:83], v190 offset:17600
	v_fma_f64 v[84:85], v[98:99], v[0:1], v[84:85]
	v_fma_f64 v[2:3], v[98:99], v[2:3], -v[86:87]
	v_mul_f64 v[86:87], v[194:195], v[16:17]
	v_mul_f64 v[0:1], v[194:195], v[18:19]
	v_fma_f64 v[18:19], v[192:193], v[18:19], -v[86:87]
	v_mul_f64 v[86:87], v[214:215], v[44:45]
	v_fma_f64 v[16:17], v[192:193], v[16:17], v[0:1]
	v_mul_f64 v[0:1], v[206:207], v[38:39]
	v_fma_f64 v[44:45], v[212:213], v[44:45], v[96:97]
	s_waitcnt lgkmcnt(2)
	v_mul_f64 v[96:97], v[230:231], v[74:75]
	v_fma_f64 v[38:39], v[204:205], v[38:39], -v[94:95]
	v_mul_f64 v[94:95], v[222:223], v[60:61]
	v_fma_f64 v[46:47], v[212:213], v[46:47], -v[86:87]
	v_mul_f64 v[86:87], v[218:219], v[50:51]
	v_fma_f64 v[36:37], v[204:205], v[36:37], v[0:1]
	v_mul_f64 v[0:1], v[210:211], v[40:41]
	s_waitcnt vmcnt(0)
	v_mul_f64 v[90:91], v[102:103], v[14:15]
	v_mul_f64 v[92:93], v[102:103], v[12:13]
	v_fma_f64 v[12:13], v[100:101], v[12:13], v[90:91]
	v_fma_f64 v[14:15], v[100:101], v[14:15], -v[92:93]
	v_mul_f64 v[90:91], v[202:203], v[26:27]
	v_mul_f64 v[92:93], v[202:203], v[24:25]
	v_add_f64 v[98:99], v[2:3], -v[14:15]
	v_fma_f64 v[90:91], v[200:201], v[24:25], v[90:91]
	v_fma_f64 v[24:25], v[200:201], v[26:27], -v[92:93]
	v_mul_f64 v[26:27], v[210:211], v[42:43]
	v_mul_f64 v[92:93], v[218:219], v[48:49]
	v_fma_f64 v[48:49], v[216:217], v[48:49], v[86:87]
	v_mul_f64 v[86:87], v[226:227], v[66:67]
	v_fma_f64 v[42:43], v[208:209], v[42:43], -v[0:1]
	v_mul_f64 v[0:1], v[230:231], v[72:73]
	v_fma_f64 v[40:41], v[208:209], v[40:41], v[26:27]
	v_mul_f64 v[26:27], v[222:223], v[62:63]
	v_fma_f64 v[50:51], v[216:217], v[50:51], -v[92:93]
	v_fma_f64 v[92:93], v[228:229], v[72:73], v[96:97]
	v_add_f64 v[72:73], v[84:85], v[12:13]
	v_fma_f64 v[86:87], v[224:225], v[64:65], v[86:87]
	v_fma_f64 v[62:63], v[220:221], v[62:63], -v[94:95]
	v_fma_f64 v[74:75], v[228:229], v[74:75], -v[0:1]
	s_waitcnt lgkmcnt(1)
	v_mul_f64 v[0:1], v[234:235], v[78:79]
	v_fma_f64 v[60:61], v[220:221], v[60:61], v[26:27]
	v_mul_f64 v[26:27], v[226:227], v[64:65]
	v_mul_f64 v[64:65], v[234:235], v[76:77]
	s_waitcnt lgkmcnt(0)
	v_mul_f64 v[94:95], v[238:239], v[82:83]
	v_fma_f64 v[72:73], v[72:73], -0.5, v[4:5]
	v_mul_f64 v[96:97], v[238:239], v[80:81]
	v_fma_f64 v[76:77], v[232:233], v[76:77], v[0:1]
	v_fma_f64 v[66:67], v[224:225], v[66:67], -v[26:27]
	v_add_f64 v[26:27], v[4:5], v[84:85]
	v_fma_f64 v[78:79], v[232:233], v[78:79], -v[64:65]
	v_add_f64 v[64:65], v[2:3], v[14:15]
	v_fma_f64 v[80:81], v[236:237], v[80:81], v[94:95]
	v_fma_f64 v[4:5], v[98:99], s[0:1], v[72:73]
	v_add_f64 v[2:3], v[6:7], v[2:3]
	v_add_f64 v[84:85], v[84:85], -v[12:13]
	v_add_f64 v[94:95], v[22:23], v[18:19]
	v_add_f64 v[0:1], v[26:27], v[12:13]
	;; [unrolled: 1-line block ×3, first 2 shown]
	v_fma_f64 v[64:65], v[64:65], -0.5, v[6:7]
	v_fma_f64 v[12:13], v[98:99], s[2:3], v[72:73]
	v_add_f64 v[72:73], v[8:9], v[20:21]
	v_fma_f64 v[82:83], v[236:237], v[82:83], -v[96:97]
	v_add_f64 v[2:3], v[2:3], v[14:15]
	v_add_f64 v[96:97], v[22:23], -v[18:19]
	v_add_f64 v[22:23], v[10:11], v[22:23]
	v_fma_f64 v[26:27], v[26:27], -0.5, v[8:9]
	v_fma_f64 v[6:7], v[84:85], s[2:3], v[64:65]
	v_fma_f64 v[14:15], v[84:85], s[0:1], v[64:65]
	v_add_f64 v[8:9], v[72:73], v[16:17]
	v_add_f64 v[64:65], v[90:91], v[36:37]
	v_fma_f64 v[72:73], v[94:95], -0.5, v[10:11]
	v_add_f64 v[84:85], v[20:21], -v[16:17]
	v_add_f64 v[10:11], v[22:23], v[18:19]
	v_fma_f64 v[16:17], v[96:97], s[0:1], v[26:27]
	v_fma_f64 v[20:21], v[96:97], s[2:3], v[26:27]
	v_add_f64 v[26:27], v[28:29], v[90:91]
	v_add_f64 v[94:95], v[24:25], v[38:39]
	v_fma_f64 v[64:65], v[64:65], -0.5, v[28:29]
	v_add_f64 v[96:97], v[24:25], -v[38:39]
	v_fma_f64 v[18:19], v[84:85], s[2:3], v[72:73]
	v_fma_f64 v[22:23], v[84:85], s[0:1], v[72:73]
	v_add_f64 v[72:73], v[30:31], v[24:25]
	v_add_f64 v[84:85], v[44:45], v[40:41]
	;; [unrolled: 1-line block ×3, first 2 shown]
	v_fma_f64 v[94:95], v[94:95], -0.5, v[30:31]
	v_add_f64 v[90:91], v[90:91], -v[36:37]
	v_fma_f64 v[28:29], v[96:97], s[0:1], v[64:65]
	v_fma_f64 v[36:37], v[96:97], s[2:3], v[64:65]
	v_add_f64 v[64:65], v[32:33], v[44:45]
	v_add_f64 v[26:27], v[72:73], v[38:39]
	;; [unrolled: 1-line block ×3, first 2 shown]
	v_fma_f64 v[84:85], v[84:85], -0.5, v[32:33]
	v_add_f64 v[96:97], v[46:47], -v[42:43]
	v_fma_f64 v[30:31], v[90:91], s[2:3], v[94:95]
	v_add_f64 v[46:47], v[34:35], v[46:47]
	v_fma_f64 v[38:39], v[90:91], s[0:1], v[94:95]
	v_add_f64 v[32:33], v[64:65], v[40:41]
	v_add_f64 v[64:65], v[48:49], v[60:61]
	v_fma_f64 v[72:73], v[72:73], -0.5, v[34:35]
	v_add_f64 v[90:91], v[44:45], -v[40:41]
	v_fma_f64 v[40:41], v[96:97], s[0:1], v[84:85]
	v_fma_f64 v[44:45], v[96:97], s[2:3], v[84:85]
	v_add_f64 v[84:85], v[50:51], v[62:63]
	v_add_f64 v[34:35], v[46:47], v[42:43]
	;; [unrolled: 1-line block ×3, first 2 shown]
	v_fma_f64 v[64:65], v[64:65], -0.5, v[52:53]
	v_add_f64 v[96:97], v[50:51], -v[62:63]
	v_fma_f64 v[42:43], v[90:91], s[2:3], v[72:73]
	v_add_f64 v[98:99], v[92:93], v[86:87]
	v_fma_f64 v[46:47], v[90:91], s[0:1], v[72:73]
	v_add_f64 v[50:51], v[54:55], v[50:51]
	v_fma_f64 v[72:73], v[84:85], -0.5, v[54:55]
	v_add_f64 v[84:85], v[48:49], -v[60:61]
	v_add_f64 v[90:91], v[56:57], v[92:93]
	v_add_f64 v[48:49], v[94:95], v[60:61]
	v_fma_f64 v[52:53], v[96:97], s[0:1], v[64:65]
	v_fma_f64 v[94:95], v[98:99], -0.5, v[56:57]
	v_add_f64 v[98:99], v[74:75], -v[66:67]
	v_fma_f64 v[60:61], v[96:97], s[2:3], v[64:65]
	v_add_f64 v[50:51], v[50:51], v[62:63]
	v_fma_f64 v[54:55], v[84:85], s[2:3], v[72:73]
	v_add_f64 v[96:97], v[74:75], v[66:67]
	;; [unrolled: 2-line block ×3, first 2 shown]
	v_add_f64 v[84:85], v[76:77], v[80:81]
	v_add_f64 v[90:91], v[78:79], v[82:83]
	v_fma_f64 v[64:65], v[98:99], s[0:1], v[94:95]
	v_fma_f64 v[72:73], v[98:99], s[2:3], v[94:95]
	v_add_f64 v[74:75], v[58:59], v[74:75]
	v_fma_f64 v[94:95], v[96:97], -0.5, v[58:59]
	v_add_f64 v[86:87], v[92:93], -v[86:87]
	v_add_f64 v[92:93], v[68:69], v[76:77]
	v_fma_f64 v[84:85], v[84:85], -0.5, v[68:69]
	v_add_f64 v[96:97], v[78:79], -v[82:83]
	;; [unrolled: 3-line block ×3, first 2 shown]
	v_add_f64 v[58:59], v[74:75], v[66:67]
	v_fma_f64 v[66:67], v[86:87], s[2:3], v[94:95]
	v_fma_f64 v[74:75], v[86:87], s[0:1], v[94:95]
	v_add_f64 v[68:69], v[92:93], v[80:81]
	v_fma_f64 v[76:77], v[96:97], s[0:1], v[84:85]
	v_fma_f64 v[80:81], v[96:97], s[2:3], v[84:85]
	;; [unrolled: 3-line block ×3, first 2 shown]
	ds_write_b128 v190, v[0:3]
	ds_write_b128 v190, v[4:7] offset:6160
	ds_write_b128 v190, v[12:15] offset:12320
	;; [unrolled: 1-line block ×20, first 2 shown]
	s_waitcnt lgkmcnt(0)
	; wave barrier
	s_waitcnt lgkmcnt(0)
	ds_read_b128 v[0:3], v190
	buffer_load_dword v4, off, s[48:51], 0 offset:48 ; 4-byte Folded Reload
	buffer_load_dword v5, off, s[48:51], 0 offset:52 ; 4-byte Folded Reload
	s_mov_b32 s2, 0x33a4aea8
	s_mov_b32 s3, 0x3f4c5edd
	s_waitcnt vmcnt(1)
	v_mov_b32_e32 v14, v4
	s_waitcnt vmcnt(0)
	ds_read_b128 v[4:7], v190 offset:1680
	buffer_load_dword v18, off, s[48:51], 0 offset:220 ; 4-byte Folded Reload
	buffer_load_dword v19, off, s[48:51], 0 offset:224 ; 4-byte Folded Reload
	;; [unrolled: 1-line block ×5, first 2 shown]
	v_mad_u64_u32 v[8:9], s[0:1], s10, v14, 0
	s_waitcnt vmcnt(1) lgkmcnt(1)
	v_mul_f64 v[10:11], v[20:21], v[2:3]
	v_mul_f64 v[12:13], v[20:21], v[0:1]
	v_fma_f64 v[0:1], v[18:19], v[0:1], v[10:11]
	v_fma_f64 v[2:3], v[18:19], v[2:3], -v[12:13]
	buffer_load_dword v19, off, s[48:51], 0 offset:172 ; 4-byte Folded Reload
	buffer_load_dword v20, off, s[48:51], 0 offset:176 ; 4-byte Folded Reload
	;; [unrolled: 1-line block ×4, first 2 shown]
	v_mad_u64_u32 v[14:15], s[0:1], s11, v14, v[9:10]
	s_waitcnt vmcnt(4)
	v_mad_u64_u32 v[15:16], s[0:1], s8, v17, 0
	v_mov_b32_e32 v9, v14
	v_mul_f64 v[0:1], v[0:1], s[2:3]
	v_mov_b32_e32 v10, v16
	v_mad_u64_u32 v[10:11], s[0:1], s9, v17, v[10:11]
	v_mul_f64 v[2:3], v[2:3], s[2:3]
	v_lshlrev_b64 v[8:9], 4, v[8:9]
	v_mov_b32_e32 v16, v10
	v_mov_b32_e32 v14, s7
	v_add_co_u32_e64 v17, s[0:1], s6, v8
	v_addc_co_u32_e64 v18, s[0:1], v14, v9, s[0:1]
	v_lshlrev_b64 v[8:9], 4, v[15:16]
	v_add_co_u32_e64 v14, s[0:1], v17, v8
	v_addc_co_u32_e64 v15, s[0:1], v18, v9, s[0:1]
	global_store_dwordx4 v[14:15], v[0:3], off
	s_mul_i32 s0, s9, 0x69
	s_mul_hi_u32 s1, s8, 0x69
	s_add_i32 s1, s1, s0
	s_mul_i32 s0, s8, 0x69
	s_lshl_b64 s[4:5], s[0:1], 4
	v_mov_b32_e32 v26, s5
	v_add_co_u32_e64 v14, s[0:1], s4, v14
	v_addc_co_u32_e64 v15, s[0:1], v15, v26, s[0:1]
	s_waitcnt vmcnt(1) lgkmcnt(0)
	v_mul_f64 v[10:11], v[21:22], v[6:7]
	v_mul_f64 v[12:13], v[21:22], v[4:5]
	v_fma_f64 v[10:11], v[19:20], v[4:5], v[10:11]
	v_fma_f64 v[12:13], v[19:20], v[6:7], -v[12:13]
	ds_read_b128 v[4:7], v190 offset:3360
	v_mul_f64 v[0:1], v[10:11], s[2:3]
	ds_read_b128 v[8:11], v190 offset:5040
	buffer_load_dword v18, off, s[48:51], 0 offset:76 ; 4-byte Folded Reload
	buffer_load_dword v19, off, s[48:51], 0 offset:80 ; 4-byte Folded Reload
	;; [unrolled: 1-line block ×4, first 2 shown]
	v_mul_f64 v[2:3], v[12:13], s[2:3]
	s_waitcnt vmcnt(0) lgkmcnt(1)
	v_mul_f64 v[12:13], v[20:21], v[6:7]
	v_mul_f64 v[16:17], v[20:21], v[4:5]
	buffer_load_dword v20, off, s[48:51], 0 offset:188 ; 4-byte Folded Reload
	buffer_load_dword v21, off, s[48:51], 0 offset:192 ; 4-byte Folded Reload
	;; [unrolled: 1-line block ×4, first 2 shown]
	v_fma_f64 v[4:5], v[18:19], v[4:5], v[12:13]
	v_fma_f64 v[12:13], v[18:19], v[6:7], -v[16:17]
	global_store_dwordx4 v[14:15], v[0:3], off
	v_add_co_u32_e64 v14, s[0:1], s4, v14
	v_addc_co_u32_e64 v15, s[0:1], v15, v26, s[0:1]
	v_mul_f64 v[0:1], v[4:5], s[2:3]
	ds_read_b128 v[4:7], v190 offset:6720
	v_mul_f64 v[2:3], v[12:13], s[2:3]
	s_waitcnt vmcnt(1) lgkmcnt(1)
	v_mul_f64 v[16:17], v[22:23], v[10:11]
	v_mul_f64 v[18:19], v[22:23], v[8:9]
	v_fma_f64 v[12:13], v[20:21], v[8:9], v[16:17]
	v_fma_f64 v[16:17], v[20:21], v[10:11], -v[18:19]
	ds_read_b128 v[8:11], v190 offset:8400
	buffer_load_dword v22, off, s[48:51], 0 offset:108 ; 4-byte Folded Reload
	buffer_load_dword v23, off, s[48:51], 0 offset:112 ; 4-byte Folded Reload
	;; [unrolled: 1-line block ×4, first 2 shown]
	s_waitcnt vmcnt(0) lgkmcnt(1)
	v_mul_f64 v[18:19], v[24:25], v[6:7]
	v_mul_f64 v[20:21], v[24:25], v[4:5]
	global_store_dwordx4 v[14:15], v[0:3], off
	v_add_co_u32_e64 v14, s[0:1], s4, v14
	v_mul_f64 v[0:1], v[12:13], s[2:3]
	v_mul_f64 v[2:3], v[16:17], s[2:3]
	v_addc_co_u32_e64 v15, s[0:1], v15, v26, s[0:1]
	v_fma_f64 v[4:5], v[22:23], v[4:5], v[18:19]
	v_fma_f64 v[12:13], v[22:23], v[6:7], -v[20:21]
	buffer_load_dword v20, off, s[48:51], 0 offset:204 ; 4-byte Folded Reload
	buffer_load_dword v21, off, s[48:51], 0 offset:208 ; 4-byte Folded Reload
	;; [unrolled: 1-line block ×4, first 2 shown]
	s_waitcnt vmcnt(0) lgkmcnt(0)
	v_mul_f64 v[16:17], v[22:23], v[10:11]
	v_mul_f64 v[18:19], v[22:23], v[8:9]
	global_store_dwordx4 v[14:15], v[0:3], off
	v_add_co_u32_e64 v14, s[0:1], s4, v14
	v_mul_f64 v[0:1], v[4:5], s[2:3]
	ds_read_b128 v[4:7], v190 offset:10080
	v_mul_f64 v[2:3], v[12:13], s[2:3]
	v_fma_f64 v[12:13], v[20:21], v[8:9], v[16:17]
	v_fma_f64 v[16:17], v[20:21], v[10:11], -v[18:19]
	ds_read_b128 v[8:11], v190 offset:11760
	buffer_load_dword v22, off, s[48:51], 0 offset:124 ; 4-byte Folded Reload
	buffer_load_dword v23, off, s[48:51], 0 offset:128 ; 4-byte Folded Reload
	;; [unrolled: 1-line block ×4, first 2 shown]
	v_addc_co_u32_e64 v15, s[0:1], v15, v26, s[0:1]
	global_store_dwordx4 v[14:15], v[0:3], off
	s_nop 0
	v_mul_f64 v[0:1], v[12:13], s[2:3]
	v_mul_f64 v[2:3], v[16:17], s[2:3]
	v_add_co_u32_e64 v14, s[0:1], s4, v14
	v_addc_co_u32_e64 v15, s[0:1], v15, v26, s[0:1]
	s_waitcnt vmcnt(1) lgkmcnt(1)
	v_mul_f64 v[18:19], v[24:25], v[6:7]
	v_mul_f64 v[20:21], v[24:25], v[4:5]
	v_fma_f64 v[4:5], v[22:23], v[4:5], v[18:19]
	v_fma_f64 v[12:13], v[22:23], v[6:7], -v[20:21]
	buffer_load_dword v20, off, s[48:51], 0 offset:92 ; 4-byte Folded Reload
	buffer_load_dword v21, off, s[48:51], 0 offset:96 ; 4-byte Folded Reload
	;; [unrolled: 1-line block ×4, first 2 shown]
	s_waitcnt vmcnt(0) lgkmcnt(0)
	v_mul_f64 v[16:17], v[22:23], v[10:11]
	v_mul_f64 v[18:19], v[22:23], v[8:9]
	global_store_dwordx4 v[14:15], v[0:3], off
	v_add_co_u32_e64 v22, s[0:1], s4, v14
	v_mul_f64 v[0:1], v[4:5], s[2:3]
	ds_read_b128 v[4:7], v190 offset:13440
	v_mul_f64 v[2:3], v[12:13], s[2:3]
	v_fma_f64 v[12:13], v[20:21], v[8:9], v[16:17]
	v_fma_f64 v[16:17], v[20:21], v[10:11], -v[18:19]
	ds_read_b128 v[8:11], v190 offset:15120
	buffer_load_dword v27, off, s[48:51], 0 offset:140 ; 4-byte Folded Reload
	buffer_load_dword v28, off, s[48:51], 0 offset:144 ; 4-byte Folded Reload
	;; [unrolled: 1-line block ×4, first 2 shown]
	v_addc_co_u32_e64 v23, s[0:1], v15, v26, s[0:1]
	global_store_dwordx4 v[22:23], v[0:3], off
	s_nop 0
	v_mul_f64 v[0:1], v[12:13], s[2:3]
	ds_read_b128 v[12:15], v190 offset:16800
	v_mul_f64 v[2:3], v[16:17], s[2:3]
	v_add_co_u32_e64 v22, s[0:1], s4, v22
	v_addc_co_u32_e64 v23, s[0:1], v23, v26, s[0:1]
	s_waitcnt vmcnt(1) lgkmcnt(2)
	v_mul_f64 v[18:19], v[29:30], v[6:7]
	v_mul_f64 v[20:21], v[29:30], v[4:5]
	v_fma_f64 v[4:5], v[27:28], v[4:5], v[18:19]
	v_fma_f64 v[6:7], v[27:28], v[6:7], -v[20:21]
	buffer_load_dword v27, off, s[48:51], 0 offset:60 ; 4-byte Folded Reload
	buffer_load_dword v28, off, s[48:51], 0 offset:64 ; 4-byte Folded Reload
	;; [unrolled: 1-line block ×4, first 2 shown]
	s_waitcnt vmcnt(0) lgkmcnt(1)
	v_mul_f64 v[16:17], v[29:30], v[10:11]
	v_mul_f64 v[18:19], v[29:30], v[8:9]
	buffer_load_dword v29, off, s[48:51], 0 offset:156 ; 4-byte Folded Reload
	buffer_load_dword v30, off, s[48:51], 0 offset:160 ; 4-byte Folded Reload
	;; [unrolled: 1-line block ×4, first 2 shown]
	s_waitcnt vmcnt(0) lgkmcnt(0)
	v_mul_f64 v[20:21], v[31:32], v[14:15]
	v_mul_f64 v[24:25], v[31:32], v[12:13]
	global_store_dwordx4 v[22:23], v[0:3], off
	s_nop 0
	v_mul_f64 v[0:1], v[4:5], s[2:3]
	v_mul_f64 v[2:3], v[6:7], s[2:3]
	v_fma_f64 v[4:5], v[27:28], v[8:9], v[16:17]
	v_fma_f64 v[6:7], v[27:28], v[10:11], -v[18:19]
	v_fma_f64 v[8:9], v[29:30], v[12:13], v[20:21]
	v_fma_f64 v[10:11], v[29:30], v[14:15], -v[24:25]
	v_add_co_u32_e64 v12, s[0:1], s4, v22
	v_addc_co_u32_e64 v13, s[0:1], v23, v26, s[0:1]
	v_mul_f64 v[4:5], v[4:5], s[2:3]
	v_mul_f64 v[6:7], v[6:7], s[2:3]
	;; [unrolled: 1-line block ×4, first 2 shown]
	global_store_dwordx4 v[12:13], v[0:3], off
	s_nop 0
	v_add_co_u32_e64 v0, s[0:1], s4, v12
	v_addc_co_u32_e64 v1, s[0:1], v13, v26, s[0:1]
	global_store_dwordx4 v[0:1], v[4:7], off
	v_add_co_u32_e64 v0, s[0:1], s4, v0
	v_addc_co_u32_e64 v1, s[0:1], v1, v26, s[0:1]
	global_store_dwordx4 v[0:1], v[8:11], off
	s_and_b64 exec, exec, vcc
	s_cbranch_execz .LBB0_23
; %bb.22:
	global_load_dwordx4 v[2:5], v[88:89], off offset:880
	ds_read_b128 v[6:9], v190 offset:880
	ds_read_b128 v[10:13], v190 offset:2560
	v_mov_b32_e32 v18, s5
	s_waitcnt vmcnt(0) lgkmcnt(1)
	v_mul_f64 v[14:15], v[8:9], v[4:5]
	v_mul_f64 v[4:5], v[6:7], v[4:5]
	v_fma_f64 v[6:7], v[6:7], v[2:3], v[14:15]
	v_fma_f64 v[4:5], v[2:3], v[8:9], -v[4:5]
	v_mul_f64 v[2:3], v[6:7], s[2:3]
	v_mul_f64 v[4:5], v[4:5], s[2:3]
	v_mov_b32_e32 v6, 0xffffc1d0
	v_mad_u64_u32 v[6:7], s[0:1], s8, v6, v[0:1]
	s_mul_i32 s0, s9, 0xffffc1d0
	s_sub_i32 s0, s0, s8
	v_add_u32_e32 v7, s0, v7
	s_movk_i32 s0, 0x1000
	global_store_dwordx4 v[6:7], v[2:5], off
	global_load_dwordx4 v[0:3], v[88:89], off offset:2560
	s_waitcnt vmcnt(0) lgkmcnt(0)
	v_mul_f64 v[4:5], v[12:13], v[2:3]
	v_mul_f64 v[2:3], v[10:11], v[2:3]
	v_fma_f64 v[4:5], v[10:11], v[0:1], v[4:5]
	v_fma_f64 v[2:3], v[0:1], v[12:13], -v[2:3]
	v_add_co_u32_e32 v12, vcc, s0, v88
	v_addc_co_u32_e32 v13, vcc, 0, v89, vcc
	v_add_co_u32_e32 v14, vcc, s4, v6
	v_mul_f64 v[0:1], v[4:5], s[2:3]
	v_mul_f64 v[2:3], v[2:3], s[2:3]
	v_addc_co_u32_e32 v15, vcc, v7, v18, vcc
	s_movk_i32 s0, 0x2000
	global_store_dwordx4 v[14:15], v[0:3], off
	global_load_dwordx4 v[0:3], v[12:13], off offset:144
	ds_read_b128 v[4:7], v190 offset:4240
	ds_read_b128 v[8:11], v190 offset:5920
	s_waitcnt vmcnt(0) lgkmcnt(1)
	v_mul_f64 v[16:17], v[6:7], v[2:3]
	v_mul_f64 v[2:3], v[4:5], v[2:3]
	v_fma_f64 v[4:5], v[4:5], v[0:1], v[16:17]
	v_fma_f64 v[2:3], v[0:1], v[6:7], -v[2:3]
	v_mul_f64 v[0:1], v[4:5], s[2:3]
	v_mul_f64 v[2:3], v[2:3], s[2:3]
	v_add_co_u32_e32 v4, vcc, s4, v14
	v_addc_co_u32_e32 v5, vcc, v15, v18, vcc
	v_add_co_u32_e32 v14, vcc, s4, v4
	v_addc_co_u32_e32 v15, vcc, v5, v18, vcc
	global_store_dwordx4 v[4:5], v[0:3], off
	global_load_dwordx4 v[0:3], v[12:13], off offset:1824
	s_waitcnt vmcnt(0) lgkmcnt(0)
	v_mul_f64 v[6:7], v[10:11], v[2:3]
	v_mul_f64 v[2:3], v[8:9], v[2:3]
	v_fma_f64 v[6:7], v[8:9], v[0:1], v[6:7]
	v_fma_f64 v[2:3], v[0:1], v[10:11], -v[2:3]
	v_mul_f64 v[0:1], v[6:7], s[2:3]
	v_mul_f64 v[2:3], v[2:3], s[2:3]
	global_store_dwordx4 v[14:15], v[0:3], off
	global_load_dwordx4 v[0:3], v[12:13], off offset:3504
	ds_read_b128 v[4:7], v190 offset:7600
	ds_read_b128 v[8:11], v190 offset:9280
	s_waitcnt vmcnt(0) lgkmcnt(1)
	v_mul_f64 v[12:13], v[6:7], v[2:3]
	v_mul_f64 v[2:3], v[4:5], v[2:3]
	v_fma_f64 v[4:5], v[4:5], v[0:1], v[12:13]
	v_fma_f64 v[2:3], v[0:1], v[6:7], -v[2:3]
	v_mul_f64 v[0:1], v[4:5], s[2:3]
	v_mul_f64 v[2:3], v[2:3], s[2:3]
	v_add_co_u32_e32 v4, vcc, s0, v88
	v_addc_co_u32_e32 v5, vcc, 0, v89, vcc
	v_add_co_u32_e32 v6, vcc, s4, v14
	v_addc_co_u32_e32 v7, vcc, v15, v18, vcc
	global_store_dwordx4 v[6:7], v[0:3], off
	global_load_dwordx4 v[0:3], v[4:5], off offset:1088
	s_movk_i32 s0, 0x3000
	s_waitcnt vmcnt(0) lgkmcnt(0)
	v_mul_f64 v[12:13], v[10:11], v[2:3]
	v_mul_f64 v[2:3], v[8:9], v[2:3]
	v_fma_f64 v[8:9], v[8:9], v[0:1], v[12:13]
	v_fma_f64 v[2:3], v[0:1], v[10:11], -v[2:3]
	v_add_co_u32_e32 v12, vcc, s4, v6
	v_addc_co_u32_e32 v13, vcc, v7, v18, vcc
	v_mul_f64 v[0:1], v[8:9], s[2:3]
	v_mul_f64 v[2:3], v[2:3], s[2:3]
	global_store_dwordx4 v[12:13], v[0:3], off
	global_load_dwordx4 v[0:3], v[4:5], off offset:2768
	ds_read_b128 v[4:7], v190 offset:10960
	ds_read_b128 v[8:11], v190 offset:12640
	s_waitcnt vmcnt(0) lgkmcnt(1)
	v_mul_f64 v[14:15], v[6:7], v[2:3]
	v_mul_f64 v[2:3], v[4:5], v[2:3]
	v_fma_f64 v[4:5], v[4:5], v[0:1], v[14:15]
	v_fma_f64 v[2:3], v[0:1], v[6:7], -v[2:3]
	v_add_co_u32_e32 v14, vcc, s0, v88
	v_addc_co_u32_e32 v15, vcc, 0, v89, vcc
	s_movk_i32 s0, 0x4000
	v_mul_f64 v[0:1], v[4:5], s[2:3]
	v_mul_f64 v[2:3], v[2:3], s[2:3]
	v_add_co_u32_e32 v4, vcc, s4, v12
	v_addc_co_u32_e32 v5, vcc, v13, v18, vcc
	v_add_co_u32_e32 v12, vcc, s4, v4
	v_addc_co_u32_e32 v13, vcc, v5, v18, vcc
	global_store_dwordx4 v[4:5], v[0:3], off
	global_load_dwordx4 v[0:3], v[14:15], off offset:352
	s_waitcnt vmcnt(0) lgkmcnt(0)
	v_mul_f64 v[6:7], v[10:11], v[2:3]
	v_mul_f64 v[2:3], v[8:9], v[2:3]
	v_fma_f64 v[6:7], v[8:9], v[0:1], v[6:7]
	v_fma_f64 v[2:3], v[0:1], v[10:11], -v[2:3]
	v_mul_f64 v[0:1], v[6:7], s[2:3]
	v_mul_f64 v[2:3], v[2:3], s[2:3]
	global_store_dwordx4 v[12:13], v[0:3], off
	global_load_dwordx4 v[0:3], v[14:15], off offset:2032
	ds_read_b128 v[4:7], v190 offset:14320
	ds_read_b128 v[8:11], v190 offset:16000
	s_waitcnt vmcnt(0) lgkmcnt(1)
	v_mul_f64 v[16:17], v[6:7], v[2:3]
	v_mul_f64 v[2:3], v[4:5], v[2:3]
	v_fma_f64 v[4:5], v[4:5], v[0:1], v[16:17]
	v_fma_f64 v[2:3], v[0:1], v[6:7], -v[2:3]
	v_mul_f64 v[0:1], v[4:5], s[2:3]
	v_mul_f64 v[2:3], v[2:3], s[2:3]
	v_add_co_u32_e32 v4, vcc, s4, v12
	v_addc_co_u32_e32 v5, vcc, v13, v18, vcc
	global_store_dwordx4 v[4:5], v[0:3], off
	global_load_dwordx4 v[0:3], v[14:15], off offset:3712
	s_waitcnt vmcnt(0) lgkmcnt(0)
	v_mul_f64 v[6:7], v[10:11], v[2:3]
	v_mul_f64 v[2:3], v[8:9], v[2:3]
	v_fma_f64 v[6:7], v[8:9], v[0:1], v[6:7]
	v_fma_f64 v[2:3], v[0:1], v[10:11], -v[2:3]
	v_mul_f64 v[0:1], v[6:7], s[2:3]
	v_mul_f64 v[2:3], v[2:3], s[2:3]
	v_add_co_u32_e32 v6, vcc, s0, v88
	v_addc_co_u32_e32 v7, vcc, 0, v89, vcc
	v_add_co_u32_e32 v8, vcc, s4, v4
	v_addc_co_u32_e32 v9, vcc, v5, v18, vcc
	global_store_dwordx4 v[8:9], v[0:3], off
	global_load_dwordx4 v[0:3], v[6:7], off offset:1296
	ds_read_b128 v[4:7], v190 offset:17680
	s_waitcnt vmcnt(0) lgkmcnt(0)
	v_mul_f64 v[10:11], v[6:7], v[2:3]
	v_mul_f64 v[2:3], v[4:5], v[2:3]
	v_fma_f64 v[4:5], v[4:5], v[0:1], v[10:11]
	v_fma_f64 v[2:3], v[0:1], v[6:7], -v[2:3]
	v_mul_f64 v[0:1], v[4:5], s[2:3]
	v_mul_f64 v[2:3], v[2:3], s[2:3]
	v_add_co_u32_e32 v4, vcc, s4, v8
	v_addc_co_u32_e32 v5, vcc, v9, v18, vcc
	global_store_dwordx4 v[4:5], v[0:3], off
.LBB0_23:
	s_endpgm
	.section	.rodata,"a",@progbits
	.p2align	6, 0x0
	.amdhsa_kernel bluestein_single_fwd_len1155_dim1_dp_op_CI_CI
		.amdhsa_group_segment_fixed_size 18480
		.amdhsa_private_segment_fixed_size 844
		.amdhsa_kernarg_size 104
		.amdhsa_user_sgpr_count 6
		.amdhsa_user_sgpr_private_segment_buffer 1
		.amdhsa_user_sgpr_dispatch_ptr 0
		.amdhsa_user_sgpr_queue_ptr 0
		.amdhsa_user_sgpr_kernarg_segment_ptr 1
		.amdhsa_user_sgpr_dispatch_id 0
		.amdhsa_user_sgpr_flat_scratch_init 0
		.amdhsa_user_sgpr_private_segment_size 0
		.amdhsa_uses_dynamic_stack 0
		.amdhsa_system_sgpr_private_segment_wavefront_offset 1
		.amdhsa_system_sgpr_workgroup_id_x 1
		.amdhsa_system_sgpr_workgroup_id_y 0
		.amdhsa_system_sgpr_workgroup_id_z 0
		.amdhsa_system_sgpr_workgroup_info 0
		.amdhsa_system_vgpr_workitem_id 0
		.amdhsa_next_free_vgpr 256
		.amdhsa_next_free_sgpr 52
		.amdhsa_reserve_vcc 1
		.amdhsa_reserve_flat_scratch 0
		.amdhsa_float_round_mode_32 0
		.amdhsa_float_round_mode_16_64 0
		.amdhsa_float_denorm_mode_32 3
		.amdhsa_float_denorm_mode_16_64 3
		.amdhsa_dx10_clamp 1
		.amdhsa_ieee_mode 1
		.amdhsa_fp16_overflow 0
		.amdhsa_exception_fp_ieee_invalid_op 0
		.amdhsa_exception_fp_denorm_src 0
		.amdhsa_exception_fp_ieee_div_zero 0
		.amdhsa_exception_fp_ieee_overflow 0
		.amdhsa_exception_fp_ieee_underflow 0
		.amdhsa_exception_fp_ieee_inexact 0
		.amdhsa_exception_int_div_zero 0
	.end_amdhsa_kernel
	.text
.Lfunc_end0:
	.size	bluestein_single_fwd_len1155_dim1_dp_op_CI_CI, .Lfunc_end0-bluestein_single_fwd_len1155_dim1_dp_op_CI_CI
                                        ; -- End function
	.section	.AMDGPU.csdata,"",@progbits
; Kernel info:
; codeLenInByte = 37872
; NumSgprs: 56
; NumVgprs: 256
; ScratchSize: 844
; MemoryBound: 0
; FloatMode: 240
; IeeeMode: 1
; LDSByteSize: 18480 bytes/workgroup (compile time only)
; SGPRBlocks: 6
; VGPRBlocks: 63
; NumSGPRsForWavesPerEU: 56
; NumVGPRsForWavesPerEU: 256
; Occupancy: 1
; WaveLimiterHint : 1
; COMPUTE_PGM_RSRC2:SCRATCH_EN: 1
; COMPUTE_PGM_RSRC2:USER_SGPR: 6
; COMPUTE_PGM_RSRC2:TRAP_HANDLER: 0
; COMPUTE_PGM_RSRC2:TGID_X_EN: 1
; COMPUTE_PGM_RSRC2:TGID_Y_EN: 0
; COMPUTE_PGM_RSRC2:TGID_Z_EN: 0
; COMPUTE_PGM_RSRC2:TIDIG_COMP_CNT: 0
	.type	__hip_cuid_450debba34f2bcff,@object ; @__hip_cuid_450debba34f2bcff
	.section	.bss,"aw",@nobits
	.globl	__hip_cuid_450debba34f2bcff
__hip_cuid_450debba34f2bcff:
	.byte	0                               ; 0x0
	.size	__hip_cuid_450debba34f2bcff, 1

	.ident	"AMD clang version 19.0.0git (https://github.com/RadeonOpenCompute/llvm-project roc-6.4.0 25133 c7fe45cf4b819c5991fe208aaa96edf142730f1d)"
	.section	".note.GNU-stack","",@progbits
	.addrsig
	.addrsig_sym __hip_cuid_450debba34f2bcff
	.amdgpu_metadata
---
amdhsa.kernels:
  - .args:
      - .actual_access:  read_only
        .address_space:  global
        .offset:         0
        .size:           8
        .value_kind:     global_buffer
      - .actual_access:  read_only
        .address_space:  global
        .offset:         8
        .size:           8
        .value_kind:     global_buffer
      - .actual_access:  read_only
        .address_space:  global
        .offset:         16
        .size:           8
        .value_kind:     global_buffer
      - .actual_access:  read_only
        .address_space:  global
        .offset:         24
        .size:           8
        .value_kind:     global_buffer
      - .actual_access:  read_only
        .address_space:  global
        .offset:         32
        .size:           8
        .value_kind:     global_buffer
      - .offset:         40
        .size:           8
        .value_kind:     by_value
      - .address_space:  global
        .offset:         48
        .size:           8
        .value_kind:     global_buffer
      - .address_space:  global
        .offset:         56
        .size:           8
        .value_kind:     global_buffer
      - .address_space:  global
        .offset:         64
        .size:           8
        .value_kind:     global_buffer
      - .address_space:  global
        .offset:         72
        .size:           8
        .value_kind:     global_buffer
      - .offset:         80
        .size:           4
        .value_kind:     by_value
      - .address_space:  global
        .offset:         88
        .size:           8
        .value_kind:     global_buffer
      - .address_space:  global
        .offset:         96
        .size:           8
        .value_kind:     global_buffer
    .group_segment_fixed_size: 18480
    .kernarg_segment_align: 8
    .kernarg_segment_size: 104
    .language:       OpenCL C
    .language_version:
      - 2
      - 0
    .max_flat_workgroup_size: 55
    .name:           bluestein_single_fwd_len1155_dim1_dp_op_CI_CI
    .private_segment_fixed_size: 844
    .sgpr_count:     56
    .sgpr_spill_count: 0
    .symbol:         bluestein_single_fwd_len1155_dim1_dp_op_CI_CI.kd
    .uniform_work_group_size: 1
    .uses_dynamic_stack: false
    .vgpr_count:     256
    .vgpr_spill_count: 222
    .wavefront_size: 64
amdhsa.target:   amdgcn-amd-amdhsa--gfx906
amdhsa.version:
  - 1
  - 2
...

	.end_amdgpu_metadata
